;; amdgpu-corpus repo=ROCm/rocFFT kind=compiled arch=gfx1201 opt=O3
	.text
	.amdgcn_target "amdgcn-amd-amdhsa--gfx1201"
	.amdhsa_code_object_version 6
	.protected	bluestein_single_fwd_len1683_dim1_half_op_CI_CI ; -- Begin function bluestein_single_fwd_len1683_dim1_half_op_CI_CI
	.globl	bluestein_single_fwd_len1683_dim1_half_op_CI_CI
	.p2align	8
	.type	bluestein_single_fwd_len1683_dim1_half_op_CI_CI,@function
bluestein_single_fwd_len1683_dim1_half_op_CI_CI: ; @bluestein_single_fwd_len1683_dim1_half_op_CI_CI
; %bb.0:
	s_load_b128 s[12:15], s[0:1], 0x28
	v_mul_u32_u24_e32 v1, 0x506, v0
	s_mov_b32 s2, exec_lo
	v_mov_b32_e32 v5, 0
	s_delay_alu instid0(VALU_DEP_2) | instskip(NEXT) | instid1(VALU_DEP_1)
	v_lshrrev_b32_e32 v1, 16, v1
	v_add_nc_u32_e32 v4, ttmp9, v1
	s_wait_kmcnt 0x0
	s_delay_alu instid0(VALU_DEP_1)
	v_cmpx_gt_u64_e64 s[12:13], v[4:5]
	s_cbranch_execz .LBB0_15
; %bb.1:
	s_clause 0x1
	s_load_b128 s[4:7], s[0:1], 0x18
	s_load_b64 s[12:13], s[0:1], 0x0
	v_mul_lo_u16 v1, v1, 51
	v_mov_b32_e32 v5, v4
	s_delay_alu instid0(VALU_DEP_2) | instskip(SKIP_2) | instid1(VALU_DEP_1)
	v_sub_nc_u16 v11, v0, v1
	scratch_store_b64 off, v[5:6], off      ; 8-byte Folded Spill
	v_and_b32_e32 v130, 0xffff, v11
	v_lshlrev_b32_e32 v102, 2, v130
	s_wait_kmcnt 0x0
	s_load_b128 s[8:11], s[4:5], 0x0
	s_clause 0x10
	global_load_b32 v135, v102, s[12:13]
	global_load_b32 v134, v102, s[12:13] offset:396
	global_load_b32 v132, v102, s[12:13] offset:792
	;; [unrolled: 1-line block ×16, first 2 shown]
	v_add_nc_u32_e32 v7, 0x1200, v102
	v_add_nc_u32_e32 v8, 0x1400, v102
	s_wait_kmcnt 0x0
	v_mad_co_u64_u32 v[0:1], null, s10, v4, 0
	v_mad_co_u64_u32 v[2:3], null, s8, v130, 0
	s_mul_u64 s[2:3], s[8:9], 0x63
	s_delay_alu instid0(VALU_DEP_1) | instskip(NEXT) | instid1(VALU_DEP_2)
	v_mad_co_u64_u32 v[4:5], null, s11, v4, v[1:2]
	v_mov_b32_e32 v1, v3
	s_delay_alu instid0(VALU_DEP_1) | instskip(NEXT) | instid1(VALU_DEP_3)
	v_mad_co_u64_u32 v[5:6], null, s9, v130, v[1:2]
	v_dual_mov_b32 v1, v4 :: v_dual_add_nc_u32 v6, 0xe00, v102
	v_add_nc_u32_e32 v4, 0x800, v102
	s_delay_alu instid0(VALU_DEP_2) | instskip(NEXT) | instid1(VALU_DEP_4)
	v_lshlrev_b64_e32 v[0:1], 2, v[0:1]
	v_mov_b32_e32 v3, v5
	v_add_nc_u32_e32 v5, 0xc00, v102
	s_delay_alu instid0(VALU_DEP_2) | instskip(NEXT) | instid1(VALU_DEP_4)
	v_lshlrev_b64_e32 v[2:3], 2, v[2:3]
	v_add_co_u32 v9, vcc_lo, s14, v0
	v_add_co_ci_u32_e32 v10, vcc_lo, s15, v1, vcc_lo
	s_lshl_b64 s[14:15], s[2:3], 2
	s_delay_alu instid0(VALU_DEP_2) | instskip(SKIP_1) | instid1(VALU_DEP_2)
	v_add_co_u32 v0, vcc_lo, v9, v2
	s_wait_alu 0xfffd
	v_add_co_ci_u32_e32 v1, vcc_lo, v10, v3, vcc_lo
	v_add_co_u32 v16, s2, s12, v102
	s_wait_alu 0xfffe
	v_add_co_u32 v2, vcc_lo, v0, s14
	s_wait_alu 0xfffd
	v_add_co_ci_u32_e32 v3, vcc_lo, s15, v1, vcc_lo
	global_load_b32 v12, v[0:1], off
	v_add_co_ci_u32_e64 v17, null, s13, 0, s2
	global_load_b32 v13, v[2:3], off
	v_add_co_u32 v0, vcc_lo, v2, s14
	s_wait_alu 0xfffd
	v_add_co_ci_u32_e32 v1, vcc_lo, s15, v3, vcc_lo
	s_delay_alu instid0(VALU_DEP_2) | instskip(SKIP_1) | instid1(VALU_DEP_2)
	v_add_co_u32 v2, vcc_lo, v0, s14
	s_wait_alu 0xfffd
	v_add_co_ci_u32_e32 v3, vcc_lo, s15, v1, vcc_lo
	s_clause 0x1
	global_load_b32 v14, v[0:1], off
	global_load_b32 v15, v[2:3], off
	v_add_co_u32 v0, vcc_lo, v2, s14
	s_wait_alu 0xfffd
	v_add_co_ci_u32_e32 v1, vcc_lo, s15, v3, vcc_lo
	s_delay_alu instid0(VALU_DEP_2) | instskip(SKIP_1) | instid1(VALU_DEP_2)
	v_add_co_u32 v2, vcc_lo, v0, s14
	s_wait_alu 0xfffd
	v_add_co_ci_u32_e32 v3, vcc_lo, s15, v1, vcc_lo
	global_load_b32 v19, v[0:1], off
	global_load_b32 v20, v[2:3], off
	v_add_co_u32 v0, vcc_lo, v2, s14
	s_wait_alu 0xfffd
	v_add_co_ci_u32_e32 v1, vcc_lo, s15, v3, vcc_lo
	s_delay_alu instid0(VALU_DEP_2) | instskip(SKIP_1) | instid1(VALU_DEP_2)
	v_add_co_u32 v2, vcc_lo, v0, s14
	s_wait_alu 0xfffd
	v_add_co_ci_u32_e32 v3, vcc_lo, s15, v1, vcc_lo
	global_load_b32 v21, v[0:1], off
	v_add_co_u32 v0, vcc_lo, v2, s14
	s_wait_alu 0xfffd
	v_add_co_ci_u32_e32 v1, vcc_lo, s15, v3, vcc_lo
	global_load_b32 v22, v[2:3], off
	global_load_b32 v23, v[0:1], off
	v_add_co_u32 v0, vcc_lo, v0, s14
	s_wait_alu 0xfffd
	v_add_co_ci_u32_e32 v1, vcc_lo, s15, v1, vcc_lo
	s_delay_alu instid0(VALU_DEP_2) | instskip(SKIP_1) | instid1(VALU_DEP_2)
	v_add_co_u32 v2, vcc_lo, v0, s14
	s_wait_alu 0xfffd
	v_add_co_ci_u32_e32 v3, vcc_lo, s15, v1, vcc_lo
	global_load_b32 v24, v[0:1], off
	;; [unrolled: 13-line block ×3, first 2 shown]
	v_add_co_u32 v0, vcc_lo, v2, s14
	s_wait_alu 0xfffd
	v_add_co_ci_u32_e32 v1, vcc_lo, s15, v3, vcc_lo
	global_load_b32 v28, v[2:3], off
	v_add_co_u32 v2, vcc_lo, v0, s14
	s_wait_alu 0xfffd
	v_add_co_ci_u32_e32 v3, vcc_lo, s15, v1, vcc_lo
	global_load_b32 v29, v[0:1], off
	;; [unrolled: 4-line block ×3, first 2 shown]
	global_load_b32 v31, v[0:1], off
	s_load_b64 s[10:11], s[0:1], 0x38
	s_load_b128 s[4:7], s[6:7], 0x0
	v_add_nc_u32_e32 v2, 0x200, v102
	v_add_nc_u32_e32 v3, 0x400, v102
	v_cmp_gt_u16_e32 vcc_lo, 48, v11
	v_or_b32_e32 v11, 0x600, v130
	scratch_store_b32 off, v11, off offset:116 ; 4-byte Folded Spill
	s_wait_loadcnt 0x19
	v_lshrrev_b32_e32 v46, 16, v119
	v_lshrrev_b32_e32 v34, 16, v135
	s_wait_loadcnt 0x18
	v_lshrrev_b32_e32 v45, 16, v117
	v_lshrrev_b32_e32 v52, 16, v134
	;; [unrolled: 3-line block ×8, first 2 shown]
	s_wait_loadcnt 0x11
	v_lshrrev_b32_e32 v38, 16, v104
	s_wait_loadcnt 0x10
	v_lshrrev_b32_e32 v32, 16, v12
	v_mul_f16_e32 v33, v34, v12
	s_wait_loadcnt 0xf
	v_lshrrev_b32_e32 v35, 16, v13
	v_mul_f16_e32 v36, v52, v13
	v_mul_f16_e32 v34, v34, v32
	v_fma_f16 v32, v135, v32, -v33
	s_delay_alu instid0(VALU_DEP_2)
	v_fmac_f16_e64 v34, v135, v12
	v_mul_f16_e32 v12, v52, v35
	v_fma_f16 v35, v134, v35, -v36
	s_wait_loadcnt 0xe
	v_lshrrev_b32_e32 v33, 16, v14
	v_mul_f16_e32 v36, v37, v14
	v_pack_b32_f16 v32, v34, v32
	v_fmac_f16_e64 v12, v134, v13
	s_wait_loadcnt 0xd
	v_lshrrev_b32_e32 v34, 16, v15
	v_mul_f16_e32 v13, v37, v33
	v_mul_f16_e32 v37, v51, v15
	v_fma_f16 v33, v132, v33, -v36
	v_pack_b32_f16 v12, v12, v35
	s_delay_alu instid0(VALU_DEP_4)
	v_fmac_f16_e64 v13, v132, v14
	v_mul_f16_e32 v14, v51, v34
	s_wait_loadcnt 0xc
	v_lshrrev_b32_e32 v35, 16, v19
	v_fma_f16 v34, v129, v34, -v37
	v_mul_f16_e32 v36, v50, v19
	ds_store_2addr_b32 v102, v32, v12 offset1:99
	v_pack_b32_f16 v12, v13, v33
	v_fmac_f16_e64 v14, v129, v15
	v_mul_f16_e32 v13, v50, v35
	s_wait_loadcnt 0xb
	v_lshrrev_b32_e32 v15, 16, v20
	v_mul_f16_e32 v32, v49, v20
	v_fma_f16 v33, v127, v35, -v36
	v_pack_b32_f16 v14, v14, v34
	v_fmac_f16_e32 v13, v127, v19
	v_mul_f16_e32 v19, v49, v15
	v_fma_f16 v15, v125, v15, -v32
	s_wait_loadcnt 0xa
	v_lshrrev_b32_e32 v32, 16, v21
	v_mul_f16_e32 v34, v48, v21
	ds_store_2addr_b32 v2, v12, v14 offset0:70 offset1:169
	v_pack_b32_f16 v12, v13, v33
	v_fmac_f16_e32 v19, v125, v20
	v_mul_f16_e32 v13, v48, v32
	s_wait_loadcnt 0x9
	v_lshrrev_b32_e32 v14, 16, v22
	v_mul_f16_e32 v20, v47, v22
	v_fma_f16 v32, v123, v32, -v34
	v_pack_b32_f16 v15, v19, v15
	v_fmac_f16_e32 v13, v123, v21
	v_mul_f16_e32 v19, v47, v14
	v_fma_f16 v14, v121, v14, -v20
	s_wait_loadcnt 0x8
	v_lshrrev_b32_e32 v20, 16, v23
	v_mul_f16_e32 v21, v46, v23
	ds_store_2addr_b32 v3, v12, v15 offset0:140 offset1:239
	v_pack_b32_f16 v12, v13, v32
	v_fmac_f16_e32 v19, v121, v22
	v_mul_f16_e32 v13, v46, v20
	s_wait_loadcnt 0x7
	v_lshrrev_b32_e32 v15, 16, v24
	v_mul_f16_e32 v22, v45, v24
	v_fma_f16 v20, v119, v20, -v21
	v_pack_b32_f16 v14, v19, v14
	v_fmac_f16_e32 v13, v119, v23
	v_mul_f16_e32 v19, v45, v15
	s_wait_loadcnt 0x6
	v_lshrrev_b32_e32 v21, 16, v25
	v_fma_f16 v15, v117, v15, -v22
	v_mul_f16_e32 v22, v44, v25
	ds_store_2addr_b32 v4, v12, v14 offset0:82 offset1:181
	v_pack_b32_f16 v12, v13, v20
	v_fmac_f16_e32 v19, v117, v24
	v_mul_f16_e32 v13, v44, v21
	s_wait_loadcnt 0x5
	v_lshrrev_b32_e32 v14, 16, v26
	v_mul_f16_e32 v20, v43, v26
	v_fma_f16 v21, v115, v21, -v22
	v_pack_b32_f16 v15, v19, v15
	v_fmac_f16_e32 v13, v115, v25
	v_mul_f16_e32 v19, v43, v14
	v_fma_f16 v14, v114, v14, -v20
	s_wait_loadcnt 0x4
	v_lshrrev_b32_e32 v20, 16, v27
	v_mul_f16_e32 v22, v42, v27
	ds_store_2addr_b32 v5, v12, v15 offset0:24 offset1:123
	v_pack_b32_f16 v12, v13, v21
	v_fmac_f16_e32 v19, v114, v26
	s_wait_loadcnt 0x3
	v_lshrrev_b32_e32 v13, 16, v28
	v_mul_f16_e32 v21, v41, v28
	v_mul_f16_e32 v15, v42, v20
	v_fma_f16 v20, v112, v20, -v22
	v_pack_b32_f16 v14, v19, v14
	v_mul_f16_e32 v19, v41, v13
	s_wait_loadcnt 0x2
	v_lshrrev_b32_e32 v22, 16, v29
	v_fma_f16 v13, v110, v13, -v21
	v_mul_f16_e32 v21, v40, v29
	s_wait_loadcnt 0x1
	v_lshrrev_b32_e32 v23, 16, v30
	s_wait_loadcnt 0x0
	v_lshrrev_b32_e32 v25, 16, v31
	v_mul_f16_e32 v24, v40, v22
	v_fmac_f16_e32 v15, v112, v27
	v_fma_f16 v21, v108, v22, -v21
	v_mul_f16_e32 v22, v39, v30
	v_mul_f16_e32 v26, v39, v23
	v_fmac_f16_e32 v19, v110, v28
	v_mul_f16_e32 v27, v38, v31
	v_mul_f16_e32 v28, v38, v25
	v_fmac_f16_e32 v24, v108, v29
	v_fma_f16 v22, v105, v23, -v22
	v_fmac_f16_e32 v26, v105, v30
	v_fma_f16 v23, v104, v25, -v27
	v_fmac_f16_e32 v28, v104, v31
	v_pack_b32_f16 v15, v15, v20
	v_pack_b32_f16 v13, v19, v13
	;; [unrolled: 1-line block ×5, first 2 shown]
	ds_store_2addr_b32 v6, v12, v14 offset0:94 offset1:193
	ds_store_2addr_b32 v7, v15, v13 offset0:36 offset1:135
	;; [unrolled: 1-line block ×3, first 2 shown]
	ds_store_b32 v102, v21 offset:6336
	s_and_saveexec_b32 s3, vcc_lo
	s_cbranch_execz .LBB0_3
; %bb.2:
	v_mad_co_u64_u32 v[0:1], null, 0xffffe80c, s8, v[0:1]
	s_mul_i32 s2, s9, 0xffffe80c
	v_or_b32_e32 v19, 0x600, v130
	s_wait_alu 0xfffe
	s_sub_co_i32 s2, s2, s8
	s_delay_alu instid0(VALU_DEP_1) | instskip(SKIP_1) | instid1(VALU_DEP_3)
	v_mad_co_u64_u32 v[11:12], null, s8, v19, 0
	s_wait_alu 0xfffe
	v_add_nc_u32_e32 v1, s2, v1
	v_add_co_u32 v13, s2, v0, s14
	s_wait_alu 0xf1ff
	s_delay_alu instid0(VALU_DEP_2)
	v_add_co_ci_u32_e64 v14, s2, s15, v1, s2
	global_load_b32 v15, v[0:1], off
	v_add_co_u32 v0, s2, v13, s14
	s_wait_alu 0xf1ff
	v_add_co_ci_u32_e64 v1, s2, s15, v14, s2
	global_load_b32 v22, v[13:14], off
	v_add_co_u32 v13, s2, v0, s14
	s_wait_alu 0xf1ff
	v_add_co_ci_u32_e64 v14, s2, s15, v1, s2
	s_clause 0x7
	global_load_b32 v23, v[16:17], off offset:204
	global_load_b32 v24, v[16:17], off offset:600
	;; [unrolled: 1-line block ×8, first 2 shown]
	v_mad_co_u64_u32 v[19:20], null, s9, v19, v[12:13]
	v_add_co_u32 v20, s2, v13, s14
	s_wait_alu 0xf1ff
	v_add_co_ci_u32_e64 v21, s2, s15, v14, s2
	s_clause 0x8
	global_load_b32 v31, v[16:17], off offset:3372
	global_load_b32 v32, v[16:17], off offset:3768
	;; [unrolled: 1-line block ×9, first 2 shown]
	v_mov_b32_e32 v12, v19
	global_load_b32 v40, v[0:1], off
	global_load_b32 v41, v[13:14], off
	;; [unrolled: 1-line block ×3, first 2 shown]
	v_lshlrev_b64_e32 v[0:1], 2, v[11:12]
	v_add_co_u32 v11, s2, v20, s14
	s_wait_alu 0xf1ff
	v_add_co_ci_u32_e64 v12, s2, s15, v21, s2
	s_delay_alu instid0(VALU_DEP_3)
	v_add_co_u32 v0, s2, v9, v0
	s_wait_alu 0xf1ff
	v_add_co_ci_u32_e64 v1, s2, v10, v1, s2
	v_add_co_u32 v9, s2, v11, s14
	s_wait_alu 0xf1ff
	v_add_co_ci_u32_e64 v10, s2, s15, v12, s2
	global_load_b32 v21, v[0:1], off
	v_add_co_u32 v0, s2, v9, s14
	s_wait_alu 0xf1ff
	v_add_co_ci_u32_e64 v1, s2, s15, v10, s2
	global_load_b32 v43, v[11:12], off
	;; [unrolled: 4-line block ×9, first 2 shown]
	v_mad_co_u64_u32 v[9:10], null, 0x318, s8, v[13:14]
	s_delay_alu instid0(VALU_DEP_1) | instskip(NEXT) | instid1(VALU_DEP_1)
	v_mov_b32_e32 v0, v10
	v_mad_co_u64_u32 v[0:1], null, 0x318, s9, v[0:1]
	global_load_b32 v1, v[11:12], off
	v_dual_mov_b32 v10, v0 :: v_dual_add_nc_u32 v11, 0x1000, v102
	global_load_b32 v0, v[13:14], off
	global_load_b32 v9, v[9:10], off
	v_add_nc_u32_e32 v10, 0x600, v102
	s_wait_loadcnt 0x21
	v_lshrrev_b32_e32 v59, 16, v15
	s_wait_loadcnt 0x1f
	v_lshrrev_b32_e32 v12, 16, v23
	;; [unrolled: 2-line block ×3, first 2 shown]
	v_lshrrev_b32_e32 v64, 16, v22
	s_wait_loadcnt 0x1d
	v_lshrrev_b32_e32 v14, 16, v25
	s_wait_loadcnt 0x1c
	v_lshrrev_b32_e32 v20, 16, v26
	v_mul_f16_e32 v63, v12, v15
	v_mul_f16_e32 v12, v12, v59
	;; [unrolled: 1-line block ×4, first 2 shown]
	s_wait_loadcnt 0x1b
	v_lshrrev_b32_e32 v50, 16, v27
	v_fma_f16 v59, v23, v59, -v63
	v_fmac_f16_e32 v12, v23, v15
	v_fma_f16 v23, v24, v64, -v66
	v_fmac_f16_e32 v13, v24, v22
	s_wait_loadcnt 0x1a
	v_lshrrev_b32_e32 v51, 16, v28
	s_wait_loadcnt 0xe
	v_lshrrev_b32_e32 v15, 16, v40
	v_mul_f16_e32 v63, v14, v40
	s_wait_loadcnt 0xd
	v_lshrrev_b32_e32 v22, 16, v41
	v_mul_f16_e32 v24, v20, v41
	v_pack_b32_f16 v12, v12, v59
	v_mul_f16_e32 v14, v14, v15
	v_fma_f16 v15, v25, v15, -v63
	v_pack_b32_f16 v13, v13, v23
	v_mul_f16_e32 v20, v20, v22
	v_fma_f16 v22, v26, v22, -v24
	v_fmac_f16_e32 v14, v25, v40
	s_wait_loadcnt 0xc
	v_lshrrev_b32_e32 v23, 16, v42
	v_mul_f16_e32 v24, v50, v42
	ds_store_2addr_b32 v102, v12, v13 offset0:51 offset1:150
	v_fmac_f16_e32 v20, v26, v41
	v_pack_b32_f16 v12, v14, v15
	v_mul_f16_e32 v13, v50, v23
	v_fma_f16 v14, v27, v23, -v24
	v_lshrrev_b32_e32 v52, 16, v29
	v_lshrrev_b32_e32 v53, 16, v30
	;; [unrolled: 1-line block ×3, first 2 shown]
	s_wait_loadcnt 0xb
	v_lshrrev_b32_e32 v25, 16, v21
	v_pack_b32_f16 v20, v20, v22
	v_fmac_f16_e32 v13, v27, v42
	v_lshrrev_b32_e32 v54, 16, v31
	s_wait_loadcnt 0xa
	v_lshrrev_b32_e32 v15, 16, v43
	v_mul_f16_e32 v23, v51, v43
	v_mul_f16_e32 v24, v62, v25
	ds_store_2addr_b32 v2, v12, v20 offset0:121 offset1:220
	v_pack_b32_f16 v12, v13, v14
	v_mul_f16_e32 v22, v51, v15
	v_fma_f16 v15, v28, v15, -v23
	s_wait_loadcnt 0x9
	v_lshrrev_b32_e32 v23, 16, v44
	v_mul_f16_e32 v26, v52, v44
	v_lshrrev_b32_e32 v55, 16, v32
	v_fmac_f16_e32 v22, v28, v43
	s_wait_loadcnt 0x8
	v_lshrrev_b32_e32 v14, 16, v45
	v_mul_f16_e32 v13, v52, v23
	v_mul_f16_e32 v20, v53, v45
	;; [unrolled: 1-line block ×3, first 2 shown]
	v_fmac_f16_e32 v24, v38, v21
	v_fma_f16 v21, v29, v23, -v26
	v_pack_b32_f16 v15, v22, v15
	v_fmac_f16_e32 v13, v29, v44
	v_mul_f16_e32 v22, v53, v14
	v_fma_f16 v14, v30, v14, -v20
	s_wait_loadcnt 0x7
	v_lshrrev_b32_e32 v20, 16, v46
	v_mul_f16_e32 v23, v54, v46
	ds_store_2addr_b32 v10, v12, v15 offset0:63 offset1:162
	v_pack_b32_f16 v10, v13, v21
	v_fmac_f16_e32 v22, v30, v45
	v_mul_f16_e32 v12, v54, v20
	s_wait_loadcnt 0x6
	v_lshrrev_b32_e32 v13, 16, v47
	v_mul_f16_e32 v15, v55, v47
	v_lshrrev_b32_e32 v56, 16, v33
	v_lshrrev_b32_e32 v57, 16, v34
	v_fma_f16 v20, v31, v20, -v23
	v_pack_b32_f16 v14, v22, v14
	v_fmac_f16_e32 v12, v31, v46
	v_mul_f16_e32 v21, v55, v13
	v_fma_f16 v13, v32, v13, -v15
	s_wait_loadcnt 0x5
	v_lshrrev_b32_e32 v15, 16, v48
	v_mul_f16_e32 v22, v56, v48
	ds_store_2addr_b32 v4, v10, v14 offset0:133 offset1:232
	v_pack_b32_f16 v10, v12, v20
	v_fmac_f16_e32 v21, v32, v47
	v_mul_f16_e32 v12, v56, v15
	s_wait_loadcnt 0x4
	v_lshrrev_b32_e32 v14, 16, v49
	v_mul_f16_e32 v20, v57, v49
	v_lshrrev_b32_e32 v58, 16, v35
	v_fma_f16 v15, v33, v15, -v22
	v_pack_b32_f16 v13, v21, v13
	v_fmac_f16_e32 v12, v33, v48
	v_mul_f16_e32 v21, v57, v14
	v_fma_f16 v14, v34, v14, -v20
	s_wait_loadcnt 0x3
	v_lshrrev_b32_e32 v20, 16, v19
	v_lshrrev_b32_e32 v60, 16, v36
	v_mul_f16_e32 v22, v58, v19
	ds_store_2addr_b32 v5, v10, v13 offset0:75 offset1:174
	v_pack_b32_f16 v10, v12, v15
	v_mul_f16_e32 v12, v58, v20
	v_lshrrev_b32_e32 v61, 16, v37
	v_fmac_f16_e32 v21, v34, v49
	s_wait_loadcnt 0x2
	v_lshrrev_b32_e32 v15, 16, v1
	v_fma_f16 v13, v35, v20, -v22
	v_mul_f16_e32 v20, v60, v1
	v_fmac_f16_e32 v12, v35, v19
	s_wait_loadcnt 0x1
	v_lshrrev_b32_e32 v19, 16, v0
	v_lshrrev_b32_e32 v65, 16, v39
	v_pack_b32_f16 v14, v21, v14
	v_mul_f16_e32 v21, v60, v15
	v_mul_f16_e32 v22, v61, v0
	s_wait_loadcnt 0x0
	v_lshrrev_b32_e32 v23, 16, v9
	v_fma_f16 v15, v36, v15, -v20
	v_mul_f16_e32 v20, v61, v19
	v_fmac_f16_e32 v21, v36, v1
	v_fma_f16 v1, v37, v19, -v22
	v_mul_f16_e32 v19, v65, v23
	v_mul_f16_e32 v22, v65, v9
	v_fma_f16 v25, v38, v25, -v40
	v_fmac_f16_e32 v20, v37, v0
	v_pack_b32_f16 v0, v12, v13
	v_fmac_f16_e32 v19, v39, v9
	v_fma_f16 v9, v39, v23, -v22
	v_pack_b32_f16 v12, v21, v15
	v_add_nc_u32_e32 v15, 0x1600, v102
	v_pack_b32_f16 v1, v20, v1
	v_pack_b32_f16 v13, v24, v25
	;; [unrolled: 1-line block ×3, first 2 shown]
	ds_store_2addr_b32 v11, v10, v14 offset0:17 offset1:116
	ds_store_2addr_b32 v7, v0, v12 offset0:87 offset1:186
	;; [unrolled: 1-line block ×3, first 2 shown]
	ds_store_b32 v102, v9 offset:6540
.LBB0_3:
	s_wait_alu 0xfffe
	s_or_b32 exec_lo, exec_lo, s3
	global_wb scope:SCOPE_SE
	s_wait_storecnt_dscnt 0x0
	s_wait_kmcnt 0x0
	s_barrier_signal -1
	s_barrier_wait -1
	global_inv scope:SCOPE_SE
	ds_load_2addr_b32 v[19:20], v102 offset1:99
	ds_load_2addr_b32 v[31:32], v2 offset0:70 offset1:169
	ds_load_2addr_b32 v[27:28], v3 offset0:140 offset1:239
	;; [unrolled: 1-line block ×7, first 2 shown]
	ds_load_b32 v88, v102 offset:6336
	s_load_b64 s[0:1], s[0:1], 0x8
	v_mov_b32_e32 v4, 0
                                        ; kill: def $vgpr0 killed $sgpr0 killed $exec
                                        ; implicit-def: $vgpr35
                                        ; implicit-def: $vgpr1
                                        ; implicit-def: $vgpr3
                                        ; implicit-def: $vgpr7
                                        ; implicit-def: $vgpr9
                                        ; implicit-def: $vgpr11
                                        ; implicit-def: $vgpr13
                                        ; implicit-def: $vgpr15
                                        ; implicit-def: $vgpr85
	s_and_saveexec_b32 s2, vcc_lo
	s_cbranch_execz .LBB0_5
; %bb.4:
	v_add_nc_u32_e32 v0, 0x200, v102
	v_add_nc_u32_e32 v1, 0x600, v102
	;; [unrolled: 1-line block ×3, first 2 shown]
	ds_load_2addr_b32 v[4:5], v102 offset0:51 offset1:150
	v_add_nc_u32_e32 v3, 0x1200, v102
	ds_load_2addr_b32 v[14:15], v0 offset0:121 offset1:220
	ds_load_2addr_b32 v[12:13], v1 offset0:63 offset1:162
	v_add_nc_u32_e32 v0, 0xc00, v102
	v_add_nc_u32_e32 v1, 0x1000, v102
	;; [unrolled: 1-line block ×3, first 2 shown]
	ds_load_2addr_b32 v[10:11], v2 offset0:133 offset1:232
	ds_load_2addr_b32 v[8:9], v0 offset0:75 offset1:174
	;; [unrolled: 1-line block ×5, first 2 shown]
	ds_load_b32 v35, v102 offset:6540
	s_wait_dscnt 0x7
	v_alignbit_b32 v85, v14, v14, 16
.LBB0_5:
	s_wait_alu 0xfffe
	s_or_b32 exec_lo, exec_lo, s2
	s_wait_dscnt 0x8
	v_pk_add_f16 v36, v19, v20
	s_wait_dscnt 0x0
	v_pk_add_f16 v14, v5, v35 neg_lo:[0,1] neg_hi:[0,1]
	v_pk_add_f16 v38, v35, v5
	v_pk_add_f16 v40, v85, v1 op_sel:[1,0] op_sel_hi:[0,1] neg_lo:[0,1] neg_hi:[0,1]
	v_lshrrev_b32_e32 v53, 16, v4
	v_pk_add_f16 v39, v36, v31
	v_lshrrev_b32_e32 v70, 16, v14
	v_lshrrev_b32_e32 v54, 16, v38
	v_mul_f16_e32 v67, 0xb5c8, v14
	v_pk_add_f16 v36, v1, v85 op_sel:[1,0] op_sel_hi:[0,1]
	v_pk_add_f16 v39, v39, v32
	v_mul_f16_e32 v61, 0xb5c8, v70
	v_pk_add_f16 v37, v15, v0 neg_lo:[0,1] neg_hi:[0,1]
	v_lshrrev_b32_e32 v74, 16, v40
	v_fma_f16 v42, v54, 0x3b76, -v67
	v_pk_add_f16 v39, v39, v27
	v_fmamk_f16 v41, v38, 0x3b76, v61
	v_mul_f16_e32 v68, 0xb964, v40
	v_lshrrev_b32_e32 v52, 16, v36
	v_mul_f16_e32 v62, 0xb964, v74
	v_pk_add_f16 v47, v39, v28
	v_add_f16_e32 v43, v41, v4
	v_lshrrev_b32_e32 v75, 16, v37
	v_add_f16_e32 v42, v42, v53
	v_pk_add_f16 v41, v0, v15
	v_fma_f16 v45, v36, 0x39e9, -v68
	v_pk_add_f16 v39, v12, v3 neg_lo:[0,1] neg_hi:[0,1]
	v_fmamk_f16 v44, v52, 0x39e9, v62
	v_mul_f16_e32 v63, 0xbb29, v75
	v_lshrrev_b32_e32 v55, 16, v41
	v_mul_f16_e32 v69, 0xbb29, v37
	v_add_f16_e32 v45, v45, v42
	v_lshrrev_b32_e32 v78, 16, v39
	v_pk_add_f16 v42, v13, v2 neg_lo:[0,1] neg_hi:[0,1]
	v_add_f16_e32 v43, v44, v43
	v_fmamk_f16 v46, v41, 0x3722, v63
	v_fma_f16 v48, v55, 0x3722, -v69
	v_pk_add_f16 v44, v3, v12
	v_mul_f16_e32 v65, 0xbbf7, v78
	v_lshrrev_b32_e32 v77, 16, v42
	v_add_f16_e32 v46, v46, v43
	v_add_f16_e32 v48, v48, v45
	v_lshrrev_b32_e32 v56, 16, v44
	v_fmamk_f16 v49, v44, 0x2de8, v65
	v_mul_f16_e32 v71, 0xbbf7, v39
	v_pk_add_f16 v45, v2, v13
	v_mul_f16_e32 v64, 0xbbb2, v77
	v_pk_add_f16 v43, v10, v7 neg_lo:[0,1] neg_hi:[0,1]
	v_add_f16_e32 v49, v49, v46
	v_fma_f16 v50, v56, 0x2de8, -v71
	v_lshrrev_b32_e32 v57, 16, v45
	v_fmamk_f16 v51, v45, 0xb461, v64
	v_mul_f16_e32 v72, 0xbbb2, v42
	v_pk_add_f16 v46, v7, v10
	v_pk_add_f16 v47, v47, v23
	v_lshrrev_b32_e32 v79, 16, v43
	v_add_f16_e32 v50, v50, v48
	v_add_f16_e32 v49, v51, v49
	v_fma_f16 v51, v57, 0xb461, -v72
	v_lshrrev_b32_e32 v58, 16, v46
	v_mul_f16_e32 v82, 0xba62, v43
	v_pk_add_f16 v47, v47, v24
	v_mul_f16_e32 v66, 0xba62, v79
	v_pk_add_f16 v48, v11, v6 neg_lo:[0,1] neg_hi:[0,1]
	v_add_f16_e32 v51, v51, v50
	v_fma_f16 v60, v58, 0xb8d2, -v82
	v_pk_add_f16 v73, v47, v21
	v_fmamk_f16 v59, v46, 0xb8d2, v66
	v_lshrrev_b32_e32 v83, 16, v48
	v_pk_add_f16 v50, v6, v11
	v_add_f16_e32 v86, v60, v51
	v_pk_add_f16 v47, v8, v9 neg_lo:[0,1] neg_hi:[0,1]
	v_pk_add_f16 v60, v73, v22
	v_add_f16_e32 v49, v59, v49
	v_mul_f16_e32 v76, 0xb836, v83
	v_lshrrev_b32_e32 v59, 16, v50
	v_mul_f16_e32 v81, 0xb836, v48
	v_lshrrev_b32_e32 v84, 16, v47
	v_pk_add_f16 v51, v9, v8
	v_pk_add_f16 v89, v60, v25
	v_fmamk_f16 v87, v50, 0xbacd, v76
	v_fma_f16 v90, v59, 0xbacd, -v81
	v_mul_f16_e32 v73, 0xb1e1, v84
	v_lshrrev_b32_e32 v60, 16, v51
	v_mul_f16_e32 v80, 0xb1e1, v47
	v_pk_add_f16 v89, v89, v26
	v_add_f16_e32 v87, v87, v49
	v_add_f16_e32 v86, v90, v86
	v_fmamk_f16 v90, v51, 0xbbdd, v73
	v_fma_f16 v91, v60, 0xbbdd, -v80
	v_pk_add_f16 v89, v89, v29
	v_add_co_u32 v49, s2, v130, 51
	s_delay_alu instid0(VALU_DEP_4) | instskip(NEXT) | instid1(VALU_DEP_4)
	v_add_f16_e64 v139, v90, v87
	v_add_f16_e64 v140, v91, v86
	s_delay_alu instid0(VALU_DEP_4)
	v_pk_add_f16 v87, v89, v30
	v_pk_add_f16 v86, v20, v88 neg_lo:[0,1] neg_hi:[0,1]
	v_mul_lo_u16 v89, v130, 17
	s_wait_alu 0xf1ff
	v_add_co_ci_u32_e64 v92, null, 0, 0, s2
	v_pk_add_f16 v90, v87, v33
	v_lshrrev_b32_e32 v91, 16, v86
	v_pk_add_f16 v87, v88, v20
	v_and_b32_e32 v20, 0xffff, v89
	v_mul_f16_e32 v94, 0xb964, v86
	v_pk_add_f16 v89, v90, v34
	v_mul_f16_e32 v90, 0xb5c8, v91
	v_pk_mul_f16 v92, 0x3b7639e9, v87
	v_lshlrev_b32_e32 v142, 2, v20
	v_lshrrev_b32_e32 v93, 16, v87
	v_pk_add_f16 v20, v89, v88
	v_fma_f16 v88, v87, 0x3b76, -v90
	v_pk_fma_f16 v89, 0xb964b5c8, v86, v92 op_sel:[0,0,1] op_sel_hi:[1,1,0] neg_lo:[0,1,0] neg_hi:[0,1,0]
	v_pk_fma_f16 v92, 0xb964b5c8, v86, v92 op_sel:[0,0,1] op_sel_hi:[1,1,0]
	v_fmac_f16_e32 v90, 0x3b76, v87
	v_fmamk_f16 v97, v93, 0x39e9, v94
	v_add_f16_e32 v95, v19, v88
	v_mul_f16_e64 v141, 0xbbf7, v91
	v_bfi_b32 v88, 0xffff, v92, v89
	v_add_f16_e32 v96, v19, v90
	v_lshrrev_b32_e32 v90, 16, v19
	v_mul_f16_e64 v144, 0xbbf7, v86
	v_mul_f16_e64 v148, 0xbbb2, v86
	v_pk_add_f16 v99, v19, v88 op_sel:[1,0] op_sel_hi:[0,1]
	v_fma_f16 v88, v93, 0x39e9, -v94
	v_mul_f16_e32 v94, 0xbb29, v86
	v_mul_f16_e64 v150, 0xba62, v91
	v_mul_f16_e32 v98, 0xbb29, v91
	v_mul_f16_e64 v145, 0xbbb2, v91
	v_add_f16_e32 v101, v90, v88
	v_fmamk_f16 v88, v93, 0x3722, v94
	v_mul_f16_e64 v151, 0xba62, v86
	v_mul_f16_e32 v91, 0xb836, v91
	v_mul_f16_e64 v156, 0xb836, v86
	v_fma_f16 v94, v93, 0x3722, -v94
	v_add_f16_e64 v143, v90, v88
	v_fma_f16 v88, v87, 0x2de8, -v141
	v_fma_f16 v153, 0xb8d2, v93, v151
	v_fma_f16 v151, v93, 0xb8d2, -v151
	v_fma_f16 v155, v87, 0xbacd, -v91
	v_fmac_f16_e32 v91, 0xbacd, v87
	v_add_f16_e64 v146, v19, v88
	v_fma_f16 v88, 0x2de8, v93, v144
	v_fma_f16 v144, v93, 0x2de8, -v144
	v_pk_add_f16 v92, v19, v92 op_sel:[1,0] op_sel_hi:[0,1]
	v_add_f16_e64 v159, v19, v91
	v_add_f16_e32 v97, v90, v97
	v_add_f16_e64 v149, v90, v88
	v_fma_f16 v88, 0xb461, v93, v148
	v_fma_f16 v148, v93, 0xb461, -v148
	v_fma_f16 v100, v87, 0x3722, -v98
	v_fmac_f16_e32 v98, 0x3722, v87
	v_add_f16_e32 v94, v90, v94
	v_add_f16_e64 v152, v90, v88
	v_fma_f16 v88, v87, 0xb8d2, -v150
	v_fmac_f16_e64 v141, 0x2de8, v87
	v_add_f16_e32 v98, v19, v98
	v_fma_f16 v147, v87, 0xb461, -v145
	v_add_f16_e64 v144, v90, v144
	v_add_f16_e64 v154, v19, v88
	v_pk_add_f16 v88, v31, v34 neg_lo:[0,1] neg_hi:[0,1]
	v_pk_add_f16 v31, v34, v31
	v_fma_f16 v34, 0xbacd, v93, v156
	v_fma_f16 v93, v93, 0xbacd, -v156
	v_add_f16_e64 v141, v19, v141
	v_lshrrev_b32_e32 v157, 16, v88
	v_pk_mul_f16 v156, 0x39e92de8, v31
	v_add_f16_e64 v158, v90, v34
	v_lshrrev_b32_e32 v161, 16, v31
	v_mul_f16_e64 v162, 0xbbf7, v88
	v_mul_f16_e64 v34, 0xb964, v157
	v_pk_fma_f16 v91, 0xbbf7b964, v88, v156 op_sel:[0,0,1] op_sel_hi:[1,1,0] neg_lo:[0,1,0] neg_hi:[0,1,0]
	v_pk_fma_f16 v156, 0xbbf7b964, v88, v156 op_sel:[0,0,1] op_sel_hi:[1,1,0]
	v_add_f16_e64 v147, v19, v147
	v_add_f16_e32 v100, v19, v100
	v_fma_f16 v160, v31, 0x39e9, -v34
	v_fmac_f16_e32 v34, 0x39e9, v31
	v_bfi_b32 v163, 0xffff, v156, v91
	v_pk_add_f16 v156, v156, v92
	v_fmac_f16_e64 v145, 0xb461, v87
	v_add_f16_e64 v95, v160, v95
	v_add_f16_e32 v96, v34, v96
	v_pk_add_f16 v99, v163, v99
	v_mul_f16_e64 v163, 0xba62, v88
	v_mul_f16_e64 v34, 0xba62, v157
	v_fma_f16 v160, 0x2de8, v161, v162
	v_fma_f16 v162, v161, 0x2de8, -v162
	v_fmac_f16_e64 v150, 0xb8d2, v87
	v_fma_f16 v92, 0xb8d2, v161, v163
	v_fma_f16 v164, v31, 0xb8d2, -v34
	v_add_f16_e64 v97, v160, v97
	v_add_f16_e64 v101, v162, v101
	v_mul_f16_e64 v160, 0xb1e1, v157
	v_fmac_f16_e32 v34, 0xb8d2, v31
	v_fma_f16 v162, v161, 0xb8d2, -v163
	v_add_f16_e64 v143, v92, v143
	v_mul_f16_e32 v92, 0xb1e1, v88
	v_fma_f16 v163, v31, 0xbbdd, -v160
	v_add_f16_e32 v98, v34, v98
	v_add_f16_e64 v94, v162, v94
	v_mul_f16_e64 v34, 0x3836, v157
	v_fma_f16 v162, 0xbbdd, v161, v92
	v_add_f16_e64 v146, v163, v146
	v_fmac_f16_e64 v160, 0xbbdd, v31
	v_fma_f16 v92, v161, 0xbbdd, -v92
	v_fma_f16 v163, v31, 0xbacd, -v34
	v_add_f16_e64 v149, v162, v149
	v_mul_f16_e64 v162, 0x3836, v88
	v_add_f16_e64 v141, v160, v141
	v_add_f16_e64 v144, v92, v144
	;; [unrolled: 1-line block ×3, first 2 shown]
	v_mul_f16_e64 v92, 0x3bb2, v157
	v_fma_f16 v160, 0xbacd, v161, v162
	v_mul_f16_e64 v163, 0x3bb2, v88
	v_add_f16_e64 v145, v19, v145
	v_add_f16_e64 v153, v90, v153
	;; [unrolled: 1-line block ×4, first 2 shown]
	v_fmac_f16_e32 v34, 0xbacd, v31
	v_fma_f16 v164, v31, 0xb461, -v92
	v_add_f16_e64 v152, v160, v152
	v_fma_f16 v160, 0xb461, v161, v163
	v_fmac_f16_e32 v92, 0xb461, v31
	v_add_f16_e64 v148, v90, v148
	v_add_f16_e64 v151, v90, v151
	v_fma_f16 v162, v161, 0xbacd, -v162
	v_add_f16_e64 v145, v34, v145
	v_add_f16_e64 v153, v160, v153
	v_fma_f16 v160, v161, 0xb461, -v163
	v_mul_f16_e64 v157, 0x3b29, v157
	v_pk_add_f16 v34, v32, v33 neg_lo:[0,1] neg_hi:[0,1]
	v_add_f16_e64 v150, v92, v150
	v_mul_f16_e32 v92, 0x3b29, v88
	v_pk_add_f16 v32, v33, v32
	v_add_f16_e64 v155, v19, v155
	v_add_f16_e64 v148, v162, v148
	;; [unrolled: 1-line block ×3, first 2 shown]
	v_fma_f16 v160, v31, 0x3722, -v157
	v_lshrrev_b32_e32 v162, 16, v34
	v_fma_f16 v33, 0x3722, v161, v92
	v_pk_mul_f16 v163, 0x3722b8d2, v32
	v_add_f16_e32 v93, v90, v93
	v_fmac_f16_e64 v157, 0x3722, v31
	v_add_f16_e64 v155, v160, v155
	v_mul_f16_e64 v160, 0xbb29, v162
	v_add_f16_e64 v158, v33, v158
	v_fma_f16 v33, v161, 0x3722, -v92
	v_pk_fma_f16 v92, 0xba62bb29, v34, v163 op_sel:[0,0,1] op_sel_hi:[1,1,0] neg_lo:[0,1,0] neg_hi:[0,1,0]
	v_pk_fma_f16 v161, 0xba62bb29, v34, v163 op_sel:[0,0,1] op_sel_hi:[1,1,0]
	v_add_f16_e64 v154, v164, v154
	v_add_f16_e64 v157, v157, v159
	v_fma_f16 v159, v32, 0x3722, -v160
	v_fmac_f16_e64 v160, 0x3722, v32
	v_lshrrev_b32_e32 v163, 16, v32
	v_mul_f16_e64 v164, 0xba62, v34
	v_add_f16_e32 v93, v33, v93
	v_bfi_b32 v33, 0xffff, v161, v92
	v_add_f16_e64 v95, v159, v95
	v_add_f16_e64 v96, v160, v96
	v_fma_f16 v159, 0xb8d2, v163, v164
	v_mul_f16_e64 v160, 0x31e1, v162
	v_pk_add_f16 v99, v33, v99
	v_fma_f16 v33, v163, 0xb8d2, -v164
	v_mul_f16_e64 v164, 0x31e1, v34
	v_add_f16_e64 v97, v159, v97
	v_fma_f16 v159, v32, 0xbbdd, -v160
	v_pk_add_f16 v156, v161, v156
	v_add_f16_e32 v101, v33, v101
	v_fma_f16 v33, 0xbbdd, v163, v164
	v_mul_f16_e64 v161, 0x3bb2, v162
	v_add_f16_e64 v100, v159, v100
	v_fmac_f16_e64 v160, 0xbbdd, v32
	v_fma_f16 v159, v163, 0xbbdd, -v164
	v_add_f16_e64 v143, v33, v143
	v_fma_f16 v33, v32, 0xb461, -v161
	v_mul_f16_e64 v164, 0x3bb2, v34
	v_add_f16_e64 v98, v160, v98
	v_add_f16_e64 v94, v159, v94
	v_mul_f16_e64 v159, 0x3964, v162
	v_add_f16_e64 v146, v33, v146
	v_fma_f16 v33, 0xb461, v163, v164
	v_fmac_f16_e64 v161, 0xb461, v32
	v_fma_f16 v160, v163, 0xb461, -v164
	v_mul_f16_e64 v165, 0x3964, v34
	v_fma_f16 v164, v32, 0x39e9, -v159
	v_add_f16_e64 v149, v33, v149
	v_add_f16_e64 v141, v161, v141
	;; [unrolled: 1-line block ×3, first 2 shown]
	v_fma_f16 v33, 0x39e9, v163, v165
	v_fmac_f16_e64 v159, 0x39e9, v32
	v_mul_f16_e64 v160, 0xb5c8, v162
	v_mul_f16_e64 v161, 0xb5c8, v34
	;; [unrolled: 1-line block ×3, first 2 shown]
	v_add_f16_e64 v152, v33, v152
	v_add_f16_e64 v145, v159, v145
	v_fma_f16 v33, v32, 0x3b76, -v160
	v_fma_f16 v159, 0x3b76, v163, v161
	v_fmac_f16_e64 v160, 0x3b76, v32
	v_add_f16_e64 v147, v164, v147
	v_fma_f16 v164, v163, 0x39e9, -v165
	v_add_f16_e64 v154, v33, v154
	v_add_f16_e64 v153, v159, v153
	v_fma_f16 v159, v163, 0x3b76, -v161
	v_fma_f16 v161, v32, 0x2de8, -v162
	v_add_f16_e64 v150, v160, v150
	v_mul_f16_e64 v160, 0xbbf7, v34
	v_pk_add_f16 v33, v27, v30 neg_lo:[0,1] neg_hi:[0,1]
	v_pk_add_f16 v27, v30, v27
	v_add_f16_e64 v155, v161, v155
	v_add_f16_e64 v151, v159, v151
	v_fma_f16 v30, 0x2de8, v163, v160
	v_fma_f16 v160, v163, 0x2de8, -v160
	v_pk_mul_f16 v161, 0x2de8bbdd, v27
	v_lshrrev_b32_e32 v159, 16, v33
	v_fmac_f16_e64 v162, 0x2de8, v32
	v_add_f16_e64 v158, v30, v158
	v_add_f16_e64 v93, v160, v93
	v_pk_fma_f16 v160, 0xb1e1bbf7, v33, v161 op_sel:[0,0,1] op_sel_hi:[1,1,0] neg_lo:[0,1,0] neg_hi:[0,1,0]
	v_pk_fma_f16 v161, 0xb1e1bbf7, v33, v161 op_sel:[0,0,1] op_sel_hi:[1,1,0]
	v_mul_f16_e64 v30, 0xbbf7, v159
	v_add_f16_e64 v148, v164, v148
	v_add_f16_e64 v157, v162, v157
	v_lshrrev_b32_e32 v163, 16, v27
	v_bfi_b32 v165, 0xffff, v161, v160
	v_fma_f16 v162, v27, 0x2de8, -v30
	v_fmac_f16_e32 v30, 0x2de8, v27
	v_mul_f16_e64 v164, 0xb1e1, v33
	v_pk_add_f16 v156, v161, v156
	v_pk_add_f16 v99, v165, v99
	v_mul_f16_e64 v165, 0x3bb2, v33
	v_add_f16_e64 v95, v162, v95
	v_add_f16_e32 v96, v30, v96
	v_mul_f16_e64 v30, 0x3bb2, v159
	v_fma_f16 v162, 0xbbdd, v163, v164
	v_fma_f16 v164, v163, 0xbbdd, -v164
	v_fma_f16 v161, 0xb461, v163, v165
	v_add_f16_e32 v89, v90, v89
	v_fma_f16 v166, v27, 0xb461, -v30
	v_add_f16_e64 v97, v162, v97
	v_add_f16_e64 v101, v164, v101
	v_mul_f16_e64 v162, 0x35c8, v159
	v_fmac_f16_e32 v30, 0xb461, v27
	v_fma_f16 v164, v163, 0xb461, -v165
	v_add_f16_e64 v143, v161, v143
	v_mul_f16_e64 v161, 0x35c8, v33
	v_fma_f16 v165, v27, 0x3b76, -v162
	v_add_f16_e32 v98, v30, v98
	v_add_f16_e64 v94, v164, v94
	v_mul_f16_e64 v30, 0xbb29, v159
	v_fma_f16 v164, 0x3b76, v163, v161
	v_add_f16_e64 v146, v165, v146
	v_fmac_f16_e64 v162, 0x3b76, v27
	v_fma_f16 v161, v163, 0x3b76, -v161
	v_fma_f16 v165, v27, 0x3722, -v30
	v_add_f16_e64 v149, v164, v149
	v_mul_f16_e64 v164, 0xbb29, v33
	v_add_f16_e64 v141, v162, v141
	v_add_f16_e64 v144, v161, v144
	;; [unrolled: 1-line block ×3, first 2 shown]
	v_mul_f16_e64 v161, 0xb836, v159
	v_fma_f16 v162, 0x3722, v163, v164
	v_mul_f16_e64 v165, 0xb836, v33
	v_add_f16_e64 v100, v166, v100
	v_fmac_f16_e32 v30, 0x3722, v27
	v_fma_f16 v166, v27, 0xbacd, -v161
	v_add_f16_e64 v152, v162, v152
	v_fma_f16 v162, 0xbacd, v163, v165
	v_fmac_f16_e64 v161, 0xbacd, v27
	v_fma_f16 v164, v163, 0x3722, -v164
	v_add_f16_e64 v145, v30, v145
	v_mul_f16_e64 v159, 0x3a62, v159
	v_add_f16_e64 v153, v162, v153
	v_fma_f16 v162, v163, 0xbacd, -v165
	v_pk_add_f16 v30, v28, v29 neg_lo:[0,1] neg_hi:[0,1]
	v_add_f16_e64 v150, v161, v150
	v_mul_f16_e64 v161, 0x3a62, v33
	v_pk_add_f16 v28, v29, v28
	v_add_f16_e64 v148, v164, v148
	v_add_f16_e64 v151, v162, v151
	v_fma_f16 v162, v27, 0xb8d2, -v159
	v_lshrrev_b32_e32 v164, 16, v30
	v_fma_f16 v29, 0xb8d2, v163, v161
	v_pk_mul_f16 v165, 0xb461bacd, v28
	v_fmac_f16_e64 v159, 0xb8d2, v27
	v_add_f16_e64 v155, v162, v155
	v_mul_f16_e64 v162, 0xbbb2, v164
	v_add_f16_e64 v29, v29, v158
	v_fma_f16 v158, v163, 0xb8d2, -v161
	v_pk_fma_f16 v161, 0x3836bbb2, v30, v165 op_sel:[0,0,1] op_sel_hi:[1,1,0] neg_lo:[0,1,0] neg_hi:[0,1,0]
	v_pk_fma_f16 v163, 0x3836bbb2, v30, v165 op_sel:[0,0,1] op_sel_hi:[1,1,0]
	v_add_f16_e64 v154, v166, v154
	v_add_f16_e64 v157, v159, v157
	v_fma_f16 v159, v28, 0xb461, -v162
	v_fmac_f16_e64 v162, 0xb461, v28
	v_lshrrev_b32_e32 v165, 16, v28
	v_mul_f16_e64 v166, 0x3836, v30
	v_add_f16_e64 v93, v158, v93
	v_bfi_b32 v158, 0xffff, v163, v161
	v_add_f16_e64 v95, v159, v95
	v_add_f16_e64 v96, v162, v96
	v_fma_f16 v159, 0xbacd, v165, v166
	v_mul_f16_e64 v162, 0x3964, v164
	v_pk_add_f16 v99, v158, v99
	v_fma_f16 v158, v165, 0xbacd, -v166
	v_mul_f16_e64 v166, 0x3964, v30
	v_add_f16_e64 v97, v159, v97
	v_fma_f16 v159, v28, 0x39e9, -v162
	v_pk_add_f16 v156, v163, v156
	v_add_f16_e64 v101, v158, v101
	v_fma_f16 v158, 0x39e9, v165, v166
	v_mul_f16_e64 v163, 0xbb29, v164
	v_add_f16_e64 v100, v159, v100
	v_fmac_f16_e64 v162, 0x39e9, v28
	v_fma_f16 v159, v165, 0x39e9, -v166
	v_add_f16_e64 v143, v158, v143
	v_fma_f16 v158, v28, 0x3722, -v163
	v_mul_f16_e64 v166, 0xbb29, v30
	v_add_f16_e64 v98, v162, v98
	v_add_f16_e64 v94, v159, v94
	v_mul_f16_e64 v159, 0xb1e1, v164
	v_add_f16_e64 v146, v158, v146
	v_fma_f16 v158, 0x3722, v165, v166
	v_fmac_f16_e64 v163, 0x3722, v28
	v_fma_f16 v162, v165, 0x3722, -v166
	v_mul_f16_e64 v167, 0xb1e1, v30
	v_fma_f16 v166, v28, 0xbbdd, -v159
	v_add_f16_e64 v149, v158, v149
	v_add_f16_e64 v141, v163, v141
	;; [unrolled: 1-line block ×3, first 2 shown]
	v_fma_f16 v158, 0xbbdd, v165, v167
	v_fmac_f16_e64 v159, 0xbbdd, v28
	v_mul_f16_e64 v162, 0x3bf7, v164
	v_mul_f16_e64 v163, 0x3bf7, v30
	;; [unrolled: 1-line block ×3, first 2 shown]
	v_add_f16_e64 v152, v158, v152
	v_add_f16_e64 v145, v159, v145
	v_fma_f16 v158, v28, 0x2de8, -v162
	v_fma_f16 v159, 0x2de8, v165, v163
	v_fmac_f16_e64 v162, 0x2de8, v28
	v_add_f16_e64 v147, v166, v147
	v_fma_f16 v166, v165, 0xbbdd, -v167
	v_add_f16_e64 v154, v158, v154
	v_add_f16_e64 v153, v159, v153
	v_fma_f16 v158, v165, 0x2de8, -v163
	v_fma_f16 v159, v28, 0x3b76, -v164
	v_add_f16_e64 v150, v162, v150
	v_mul_f16_e64 v162, 0xb5c8, v30
	v_pk_add_f16 v163, v23, v26 neg_lo:[0,1] neg_hi:[0,1]
	v_pk_add_f16 v23, v26, v23
	v_add_f16_e64 v151, v158, v151
	v_add_f16_e64 v155, v159, v155
	v_fma_f16 v26, 0x3b76, v165, v162
	v_lshrrev_b32_e32 v158, 16, v163
	v_fma_f16 v159, v165, 0x3b76, -v162
	v_pk_mul_f16 v162, 0xb8d2b461, v23
	v_fmac_f16_e64 v164, 0x3b76, v28
	v_add_f16_e32 v26, v26, v29
	v_mul_f16_e64 v29, 0xba62, v158
	v_add_f16_e64 v93, v159, v93
	v_pk_fma_f16 v159, 0x3bb2ba62, v163, v162 op_sel:[0,0,1] op_sel_hi:[1,1,0] neg_lo:[0,1,0] neg_hi:[0,1,0]
	v_pk_fma_f16 v162, 0x3bb2ba62, v163, v162 op_sel:[0,0,1] op_sel_hi:[1,1,0]
	v_add_f16_e64 v148, v166, v148
	v_add_f16_e64 v157, v164, v157
	v_fma_f16 v164, v23, 0xb8d2, -v29
	v_fmac_f16_e32 v29, 0xb8d2, v23
	v_lshrrev_b32_e32 v165, 16, v23
	v_mul_f16_e64 v166, 0x3bb2, v163
	v_bfi_b32 v167, 0xffff, v162, v159
	v_add_f16_e64 v95, v164, v95
	v_add_f16_e32 v29, v29, v96
	v_mul_f16_e64 v96, 0xb5c8, v158
	v_fma_f16 v164, 0xb461, v165, v166
	v_pk_add_f16 v99, v167, v99
	v_fma_f16 v166, v165, 0xb461, -v166
	v_mul_f16_e64 v167, 0xb5c8, v163
	v_fma_f16 v168, v23, 0x3b76, -v96
	v_add_f16_e64 v97, v164, v97
	v_pk_add_f16 v156, v162, v156
	v_add_f16_e64 v101, v166, v101
	v_fma_f16 v162, 0x3b76, v165, v167
	v_fmac_f16_e32 v96, 0x3b76, v23
	v_mul_f16_e64 v164, 0xb836, v158
	v_fma_f16 v166, v165, 0x3b76, -v167
	v_add_f16_e64 v100, v168, v100
	v_add_f16_e64 v143, v162, v143
	v_mul_f16_e64 v162, 0xb836, v163
	v_add_f16_e32 v96, v96, v98
	v_fma_f16 v98, v23, 0xbacd, -v164
	v_add_f16_e64 v94, v166, v94
	v_mul_f16_e64 v166, 0x3bf7, v158
	v_fmac_f16_e64 v164, 0xbacd, v23
	v_fma_f16 v167, 0xbacd, v165, v162
	v_add_f16_e64 v98, v98, v146
	v_fma_f16 v146, v165, 0xbacd, -v162
	v_fma_f16 v162, v23, 0x2de8, -v166
	v_add_f16_e64 v141, v164, v141
	v_mul_f16_e64 v164, 0x3bf7, v163
	v_add_f16_e64 v149, v167, v149
	v_add_f16_e64 v144, v146, v144
	;; [unrolled: 1-line block ×3, first 2 shown]
	v_mul_f16_e64 v147, 0xb964, v158
	v_mul_f16_e64 v162, 0xb964, v163
	v_fma_f16 v167, 0x2de8, v165, v164
	v_fma_f16 v164, v165, 0x2de8, -v164
	v_fmac_f16_e64 v166, 0x2de8, v23
	v_fma_f16 v168, v23, 0x39e9, -v147
	v_fma_f16 v169, 0x39e9, v165, v162
	v_fmac_f16_e64 v147, 0x39e9, v23
	v_add_f16_e64 v148, v164, v148
	v_fma_f16 v162, v165, 0x39e9, -v162
	v_mul_f16_e64 v158, 0xb1e1, v158
	v_pk_add_f16 v164, v24, v25 neg_lo:[0,1] neg_hi:[0,1]
	v_add_f16_e64 v145, v166, v145
	v_mul_f16_e64 v166, 0xb1e1, v163
	v_add_f16_e64 v147, v147, v150
	v_add_f16_e64 v150, v162, v151
	v_fma_f16 v151, v23, 0xbbdd, -v158
	v_lshrrev_b32_e32 v162, 16, v164
	v_pk_add_f16 v24, v25, v24
	v_add_f16_e64 v152, v167, v152
	v_fma_f16 v167, 0xbbdd, v165, v166
	v_fmac_f16_e64 v158, 0xbbdd, v23
	v_add_f16_e64 v25, v151, v155
	v_mul_f16_e64 v151, 0xb836, v162
	v_pk_mul_f16 v155, 0xbacd3722, v24
	v_add_f16_e64 v154, v168, v154
	v_add_f16_e64 v26, v167, v26
	;; [unrolled: 1-line block ×3, first 2 shown]
	v_fma_f16 v158, v165, 0xbbdd, -v166
	v_fma_f16 v165, v24, 0xbacd, -v151
	v_fmac_f16_e64 v151, 0xbacd, v24
	v_pk_fma_f16 v166, 0x3b29b836, v164, v155 op_sel:[0,0,1] op_sel_hi:[1,1,0] neg_lo:[0,1,0] neg_hi:[0,1,0]
	v_pk_fma_f16 v155, 0x3b29b836, v164, v155 op_sel:[0,0,1] op_sel_hi:[1,1,0]
	v_lshrrev_b32_e32 v167, 16, v24
	v_mul_f16_e64 v168, 0x3b29, v164
	v_add_f16_e64 v93, v158, v93
	v_add_f16_e64 v95, v165, v95
	v_bfi_b32 v158, 0xffff, v155, v166
	v_add_f16_e64 v29, v151, v29
	v_fma_f16 v151, 0x3722, v167, v168
	v_mul_f16_e64 v165, 0xbbf7, v162
	v_add_f16_e64 v153, v169, v153
	v_mul_f16_e64 v169, 0xbbf7, v164
	v_pk_add_f16 v99, v158, v99
	v_fma_f16 v158, v167, 0x3722, -v168
	v_add_f16_e64 v97, v151, v97
	v_fma_f16 v151, v24, 0x2de8, -v165
	v_mul_f16_e64 v170, 0x3a62, v162
	v_fma_f16 v168, 0x2de8, v167, v169
	v_add_f16_e64 v101, v158, v101
	v_mul_f16_e64 v158, 0x3a62, v164
	v_add_f16_e64 v100, v151, v100
	v_fma_f16 v151, v24, 0xb8d2, -v170
	v_fmac_f16_e64 v165, 0x2de8, v24
	v_add_f16_e64 v143, v168, v143
	v_mul_f16_e64 v168, 0xb5c8, v162
	v_fmac_f16_e64 v170, 0xb8d2, v24
	v_add_f16_e64 v98, v151, v98
	v_fma_f16 v151, 0xb8d2, v167, v158
	v_fma_f16 v158, v167, 0xb8d2, -v158
	v_mul_f16_e64 v171, 0xb5c8, v164
	v_add_f16_e64 v96, v165, v96
	v_fma_f16 v165, v167, 0x2de8, -v169
	v_fma_f16 v169, v24, 0x3b76, -v168
	v_add_f16_e64 v149, v151, v149
	v_add_f16_e64 v141, v170, v141
	;; [unrolled: 1-line block ×3, first 2 shown]
	v_fma_f16 v151, 0x3b76, v167, v171
	v_mul_f16_e64 v158, 0xb1e1, v162
	v_fmac_f16_e64 v168, 0x3b76, v24
	v_mul_f16_e64 v170, 0xb1e1, v164
	v_add_f16_e32 v89, v91, v89
	v_add_f16_e64 v151, v151, v152
	v_fma_f16 v152, v24, 0xbbdd, -v158
	v_add_f16_e64 v145, v168, v145
	v_fma_f16 v168, 0xbbdd, v167, v170
	v_pk_add_f16 v91, v21, v22 neg_lo:[0,1] neg_hi:[0,1]
	v_fmac_f16_e64 v158, 0xbbdd, v24
	v_add_f16_e64 v152, v152, v154
	v_mul_f16_e64 v154, 0x3964, v162
	v_add_f16_e64 v90, v168, v153
	v_fma_f16 v153, v167, 0xbbdd, -v170
	v_mul_f16_e64 v162, 0x3964, v164
	v_add_f16_e32 v89, v92, v89
	v_lshrrev_b32_e32 v92, 16, v91
	v_add_f16_e64 v147, v158, v147
	v_fma_f16 v158, v24, 0x39e9, -v154
	v_add_f16_e64 v150, v153, v150
	v_fma_f16 v153, 0x39e9, v167, v162
	v_fmac_f16_e64 v154, 0x39e9, v24
	v_pk_add_f16 v21, v22, v21
	v_add_f16_e64 v22, v160, v89
	v_mul_f16_e32 v89, 0xb1e1, v92
	v_add_f16_e64 v25, v158, v25
	v_add_f16_e64 v26, v153, v26
	;; [unrolled: 1-line block ×3, first 2 shown]
	v_fma_f16 v154, v167, 0x39e9, -v162
	v_add_f16_e64 v22, v161, v22
	v_fma_f16 v157, v21, 0xbbdd, -v89
	v_fmac_f16_e32 v89, 0xbbdd, v21
	v_pk_mul_f16 v158, 0xbbdd3b76, v21
	v_add_f16_e64 v93, v154, v93
	v_add_f16_e64 v22, v159, v22
	v_add_f16_e64 v95, v157, v95
	v_add_f16_e32 v29, v89, v29
	v_pk_fma_f16 v89, 0x35c8b1e1, v91, v158 op_sel:[0,0,1] op_sel_hi:[1,1,0] neg_lo:[0,1,0] neg_hi:[0,1,0]
	v_pk_fma_f16 v154, 0x35c8b1e1, v91, v158 op_sel:[0,0,1] op_sel_hi:[1,1,0]
	v_add_f16_e64 v22, v166, v22
	v_lshrrev_b32_e32 v157, 16, v21
	v_mul_f16_e64 v159, 0x35c8, v91
	v_mul_f16_e64 v161, 0xb836, v92
	v_bfi_b32 v154, 0xffff, v154, v89
	v_add_f16_e32 v22, v89, v22
	v_mul_f16_e64 v162, 0xbacd, v157
	v_fma_f16 v89, 0x3b76, v157, v159
	v_fma_f16 v159, v157, 0x3b76, -v159
	v_pk_add_f16 v99, v154, v99
	v_fma_f16 v154, v21, 0xbacd, -v161
	v_add_f16_e64 v146, v169, v146
	v_add_f16_e32 v89, v89, v97
	v_add_f16_e64 v97, v159, v101
	v_mul_f16_e32 v101, 0x3964, v92
	v_add_f16_e64 v100, v154, v100
	v_fma_f16 v154, 0xb836, v91, v162
	v_fma_f16 v169, v167, 0x3b76, -v171
	v_fmac_f16_e64 v161, 0xbacd, v21
	v_fma_f16 v166, v21, 0x39e9, -v101
	v_mul_f16_e64 v167, 0x3964, v91
	v_add_f16_e64 v143, v154, v143
	v_mul_f16_e64 v154, 0xba62, v92
	v_add_f16_e64 v96, v161, v96
	v_add_f16_e64 v98, v166, v98
	v_fma_f16 v161, 0x39e9, v157, v167
	v_fmac_f16_e32 v101, 0x39e9, v21
	v_fma_f16 v166, v157, 0x39e9, -v167
	v_fma_f16 v167, v21, 0xb8d2, -v154
	v_mul_f16_e64 v168, 0xba62, v91
	v_add_f16_e64 v149, v161, v149
	v_add_f16_e64 v101, v101, v141
	;; [unrolled: 1-line block ×4, first 2 shown]
	v_fma_f16 v146, 0xb8d2, v157, v168
	v_mul_f16_e64 v161, 0x3b29, v92
	v_mul_f16_e64 v167, 0x3b29, v91
	v_pk_mul_f16 v87, 0xbbdd, v87 op_sel_hi:[0,1]
	v_pk_mul_f16 v31, 0x3b76, v31 op_sel_hi:[0,1]
	v_add_f16_e64 v146, v146, v151
	v_fma_f16 v151, v21, 0x3722, -v161
	v_pk_mul_f16 v32, 0xbacd, v32 op_sel_hi:[0,1]
	v_fmac_f16_e64 v154, 0xb8d2, v21
	v_pk_mul_f16 v27, 0x39e9, v27 op_sel_hi:[0,1]
	v_mul_f16_e32 v92, 0xbbb2, v92
	v_add_f16_e64 v151, v151, v152
	v_fma_f16 v152, v157, 0x3722, -v167
	v_add_f16_e64 v145, v154, v145
	v_fma_f16 v154, 0x3722, v157, v167
	v_pk_mul_f16 v28, 0xb8d2, v28 op_sel_hi:[0,1]
	v_pk_mul_f16 v23, 0x3722, v23 op_sel_hi:[0,1]
	v_add_f16_e64 v150, v152, v150
	v_pk_fma_f16 v152, 0xb1e1, v86, v87 op_sel:[0,0,1] op_sel_hi:[0,1,0] neg_lo:[0,1,0] neg_hi:[0,1,0]
	v_pk_fma_f16 v86, 0xb1e1, v86, v87 op_sel:[0,0,1] op_sel_hi:[0,1,0]
	v_add_f16_e64 v90, v154, v90
	v_fma_f16 v87, v21, 0xb461, -v92
	v_mul_f16_e64 v154, 0xbbb2, v91
	v_pk_add_f16 v152, v19, v152 op_sel:[1,0] op_sel_hi:[0,1]
	v_pk_add_f16 v19, v19, v86 op_sel:[1,0] op_sel_hi:[0,1]
	v_pk_fma_f16 v86, 0x35c8, v88, v31 op_sel:[0,0,1] op_sel_hi:[0,1,0] neg_lo:[0,1,0] neg_hi:[0,1,0]
	v_pk_fma_f16 v31, 0x35c8, v88, v31 op_sel:[0,0,1] op_sel_hi:[0,1,0]
	v_add_f16_e32 v25, v87, v25
	v_fma_f16 v87, 0xb461, v157, v154
	v_pk_mul_f16 v24, 0xb461, v24 op_sel_hi:[0,1]
	v_pk_add_f16 v86, v86, v152
	v_pk_add_f16 v19, v31, v19
	v_pk_fma_f16 v31, 0xb836, v34, v32 op_sel:[0,0,1] op_sel_hi:[0,1,0] neg_lo:[0,1,0] neg_hi:[0,1,0]
	v_pk_fma_f16 v32, 0xb836, v34, v32 op_sel:[0,0,1] op_sel_hi:[0,1,0]
	v_mul_f16_e64 v159, 0xb836, v91
	v_fmac_f16_e64 v161, 0x3722, v21
	v_add_f16_e32 v26, v87, v26
	v_pk_add_f16 v31, v31, v86
	v_pk_add_f16 v19, v32, v19
	v_pk_fma_f16 v32, 0x3964, v33, v27 op_sel:[0,0,1] op_sel_hi:[0,1,0] neg_lo:[0,1,0] neg_hi:[0,1,0]
	v_pk_fma_f16 v27, 0x3964, v33, v27 op_sel:[0,0,1] op_sel_hi:[0,1,0]
	v_fmac_f16_e32 v92, 0xb461, v21
	v_pk_mul_f16 v21, 0x2de8, v21 op_sel_hi:[0,1]
	v_pk_mul_f16 v160, 0x35c8b1e1, v91
	v_pk_add_f16 v31, v32, v31
	v_pk_add_f16 v19, v27, v19
	v_pk_fma_f16 v27, 0xba62, v30, v28 op_sel:[0,0,1] op_sel_hi:[0,1,0] neg_lo:[0,1,0] neg_hi:[0,1,0]
	v_pk_fma_f16 v28, 0xba62, v30, v28 op_sel:[0,0,1] op_sel_hi:[0,1,0]
	v_pack_b32_f16 v25, v25, v26
	v_bfi_b32 v26, 0xffff, v159, v156
	v_pk_add_f16 v87, v155, v156
	v_pk_add_f16 v27, v27, v31
	;; [unrolled: 1-line block ×3, first 2 shown]
	v_pk_fma_f16 v28, 0x3b29, v163, v23 op_sel:[0,0,1] op_sel_hi:[0,1,0] neg_lo:[0,1,0] neg_hi:[0,1,0]
	v_pk_fma_f16 v23, 0x3b29, v163, v23 op_sel:[0,0,1] op_sel_hi:[0,1,0]
	v_pk_add_f16 v26, v162, v26 neg_lo:[0,1] neg_hi:[0,1]
	v_fma_f16 v34, v157, 0xb461, -v154
	v_add_f16_e64 v148, v169, v148
	v_pk_add_f16 v27, v28, v27
	v_pk_add_f16 v19, v23, v19
	v_pk_fma_f16 v23, 0xbbb2, v164, v24 op_sel:[0,0,1] op_sel_hi:[0,1,0] neg_lo:[0,1,0] neg_hi:[0,1,0]
	v_pk_fma_f16 v24, 0xbbb2, v164, v24 op_sel:[0,0,1] op_sel_hi:[0,1,0]
	v_fma_f16 v166, v157, 0xb8d2, -v168
	global_wb scope:SCOPE_SE
	s_wait_kmcnt 0x0
	s_barrier_signal -1
	v_pk_add_f16 v23, v23, v27
	v_pk_add_f16 v19, v24, v19
	v_pk_fma_f16 v24, 0x3bf7, v91, v21 op_sel:[0,0,1] op_sel_hi:[0,1,0] neg_lo:[0,1,0] neg_hi:[0,1,0]
	v_pk_fma_f16 v21, 0x3bf7, v91, v21 op_sel:[0,0,1] op_sel_hi:[0,1,0]
	s_barrier_wait -1
	global_inv scope:SCOPE_SE
	v_alignbit_b32 v32, v89, v99, 16
	v_pk_add_f16 v23, v24, v23
	v_pk_add_f16 v19, v21, v19
	v_pack_b32_f16 v21, v165, v158
	v_bfi_b32 v24, 0xffff, v94, v160
	v_pack_b32_f16 v31, v95, v99
	ds_store_2addr_b32 v142, v20, v25 offset1:7
	v_alignbit_b32 v20, v23, v19, 16
	v_alignbit_b32 v19, v19, v23, 16
	v_pk_add_f16 v21, v21, v24
	v_bfi_b32 v23, 0xffff, v26, v87
	v_add_f16_e32 v30, v34, v93
	v_pack_b32_f16 v34, v98, v149
	v_pack_b32_f16 v28, v100, v143
	v_pack_b32_f16 v86, v151, v90
	v_pack_b32_f16 v27, v144, v146
	v_add_f16_e64 v147, v161, v147
	v_add_f16_e64 v33, v92, v153
	;; [unrolled: 1-line block ×3, first 2 shown]
	ds_store_2addr_b32 v142, v31, v32 offset0:1 offset1:2
	ds_store_2addr_b32 v142, v28, v34 offset0:3 offset1:4
	;; [unrolled: 1-line block ×4, first 2 shown]
	v_pk_add_f16 v19, v23, v21
	v_pack_b32_f16 v20, v147, v150
	v_pack_b32_f16 v21, v33, v30
	v_mul_u32_u24_e32 v26, 17, v49
	v_pack_b32_f16 v23, v101, v141
	v_pack_b32_f16 v24, v145, v148
	v_alignbit_b32 v25, v97, v19, 16
	v_pack_b32_f16 v19, v96, v19
	v_pack_b32_f16 v22, v29, v22
	scratch_store_b32 off, v26, off offset:120 ; 4-byte Folded Spill
	ds_store_2addr_b32 v142, v21, v20 offset0:10 offset1:11
	ds_store_2addr_b32 v142, v24, v23 offset0:12 offset1:13
	;; [unrolled: 1-line block ×3, first 2 shown]
	ds_store_b32 v142, v22 offset:64
	s_and_saveexec_b32 s2, vcc_lo
	s_cbranch_execz .LBB0_7
; %bb.6:
	v_mul_f16_e32 v20, 0xbacd, v54
	v_mul_f16_e32 v22, 0x3722, v36
	;; [unrolled: 1-line block ×5, first 2 shown]
	v_fmamk_f16 v21, v14, 0x3836, v20
	v_fmamk_f16 v23, v40, 0xbb29, v22
	v_mul_f16_e32 v27, 0x3b76, v57
	v_mul_f16_e32 v29, 0x3b29, v74
	v_fmamk_f16 v28, v38, 0xbacd, v26
	v_add_f16_e32 v21, v21, v53
	v_mul_f16_e32 v95, 0xbbdd, v58
	v_mul_f16_e32 v97, 0xbbf7, v75
	v_fmamk_f16 v96, v52, 0x3722, v29
	v_add_f16_e32 v28, v28, v4
	v_add_f16_e32 v21, v23, v21
	v_fmamk_f16 v23, v37, 0x3bf7, v24
	v_mul_f16_e32 v98, 0x39e9, v59
	v_mul_f16_e32 v99, 0x3a62, v78
	v_add_f16_e32 v28, v96, v28
	v_fmamk_f16 v96, v41, 0x2de8, v97
	v_add_f16_e32 v21, v23, v21
	v_fmamk_f16 v23, v39, 0xba62, v25
	v_mul_f16_e32 v101, 0xb5c8, v77
	v_fmac_f16_e32 v20, 0xb836, v14
	v_add_f16_e32 v28, v96, v28
	v_fmamk_f16 v96, v44, 0xb8d2, v99
	v_add_f16_e32 v21, v23, v21
	v_fmamk_f16 v23, v42, 0x35c8, v27
	v_add_f16_e32 v20, v20, v53
	v_fmac_f16_e32 v22, 0x3b29, v40
	v_mul_f16_e64 v144, 0xb461, v60
	v_mul_f16_e64 v145, 0x3964, v83
	v_add_f16_e32 v21, v23, v21
	v_fmamk_f16 v23, v43, 0x31e1, v95
	v_add_f16_e32 v20, v22, v20
	v_fmac_f16_e32 v24, 0xbbf7, v37
	v_fma_f16 v22, 0x3bb2, v47, v144
	v_mul_f16_e64 v146, 0xbbb2, v84
	v_add_f16_e32 v21, v23, v21
	v_fmamk_f16 v23, v48, 0xb964, v98
	v_add_f16_e32 v24, v24, v20
	v_fmac_f16_e32 v25, 0x3a62, v39
	v_fmac_f16_e32 v27, 0xb5c8, v42
	v_mul_f16_e64 v147, 0xba62, v14
	v_add_f16_e32 v21, v23, v21
	v_add_f16_e32 v23, v96, v28
	v_fmamk_f16 v28, v45, 0x3b76, v101
	v_mul_f16_e32 v96, 0xb1e1, v79
	v_add_f16_e32 v24, v25, v24
	v_add_f16_e32 v20, v22, v21
	v_fma_f16 v22, v38, 0xbacd, -v26
	v_add_f16_e32 v23, v28, v23
	v_fmamk_f16 v28, v46, 0xbbdd, v96
	v_fma_f16 v25, v52, 0x3722, -v29
	v_mul_f16_e64 v148, 0x3bb2, v40
	v_add_f16_e32 v22, v22, v4
	v_fmac_f16_e32 v95, 0xb1e1, v43
	v_add_f16_e32 v23, v28, v23
	v_fma_f16 v28, 0x39e9, v50, v145
	v_fma_f16 v26, 0xb461, v36, v148
	v_add_f16_e32 v22, v25, v22
	v_fma_f16 v25, v41, 0x2de8, -v97
	v_mul_f16_e32 v97, 0xb5c8, v37
	v_add_f16_e32 v21, v28, v23
	v_fma_f16 v23, 0xb461, v51, v146
	v_fmac_f16_e32 v98, 0x3964, v48
	v_add_f16_e32 v22, v25, v22
	v_fma_f16 v25, v44, 0xb8d2, -v99
	v_mul_f16_e32 v99, 0x3bf7, v42
	v_add_f16_e32 v21, v23, v21
	v_add_f16_e32 v23, v27, v24
	v_fma_f16 v24, 0xb8d2, v54, v147
	v_add_f16_e32 v22, v25, v22
	v_fma_f16 v25, v45, 0x3b76, -v101
	v_fmac_f16_e64 v144, 0xbbb2, v47
	v_add_f16_e32 v23, v95, v23
	v_add_f16_e32 v24, v24, v53
	v_mul_f16_e32 v95, 0xb836, v39
	v_add_f16_e32 v22, v25, v22
	v_fma_f16 v25, v46, 0xbbdd, -v96
	v_mul_f16_e32 v96, 0xb964, v43
	v_add_f16_e32 v24, v26, v24
	v_fmamk_f16 v26, v55, 0x3b76, v97
	v_add_f16_e32 v23, v98, v23
	v_add_f16_e32 v22, v25, v22
	v_fma_f16 v25, v50, 0x39e9, -v145
	v_mul_f16_e32 v98, 0xb1e1, v48
	v_add_f16_e32 v24, v26, v24
	v_fmamk_f16 v26, v56, 0xbacd, v95
	v_mul_f16_e32 v101, 0xba62, v70
	v_add_f16_e32 v25, v25, v22
	v_fma_f16 v27, v51, 0xb461, -v146
	v_add_f16_e64 v22, v144, v23
	v_add_f16_e32 v24, v26, v24
	v_fmamk_f16 v26, v57, 0x2de8, v99
	v_fma_f16 v28, v38, 0xb8d2, -v101
	v_mul_f16_e64 v144, 0x3bb2, v74
	v_mul_f16_e64 v145, 0xbbb2, v14
	v_add_f16_e32 v23, v27, v25
	v_add_f16_e32 v24, v26, v24
	v_fmamk_f16 v26, v58, 0x39e9, v96
	v_add_f16_e32 v25, v28, v4
	v_mul_f16_e64 v146, 0xb5c8, v75
	v_fma_f16 v27, 0xb461, v54, v145
	v_mul_f16_e64 v150, 0x3836, v40
	v_add_f16_e32 v24, v26, v24
	v_fmamk_f16 v26, v59, 0xbbdd, v98
	v_mul_f16_e64 v151, 0xb836, v78
	v_add_f16_e32 v27, v27, v53
	v_fma_f16 v28, 0xbacd, v36, v150
	v_mul_f16_e64 v152, 0x3964, v37
	v_add_f16_e32 v24, v26, v24
	v_fma_f16 v26, v52, 0xb461, -v144
	v_mul_f16_e64 v153, 0x3bf7, v77
	v_add_f16_e32 v27, v28, v27
	v_fma_f16 v28, 0x39e9, v55, v152
	v_mul_f16_e64 v154, 0xbb29, v39
	v_add_f16_e32 v25, v26, v25
	v_fma_f16 v26, v41, 0x3b76, -v146
	v_mul_f16_e64 v155, 0xb964, v79
	v_add_f16_e32 v27, v28, v27
	v_fma_f16 v28, 0x3722, v56, v154
	v_mul_f16_e64 v156, 0xb1e1, v42
	v_add_f16_e32 v25, v26, v25
	v_fma_f16 v26, v44, 0xbacd, -v151
	v_mul_f16_e64 v157, 0x3bf7, v43
	v_add_f16_e32 v27, v28, v27
	v_fma_f16 v28, 0xbbdd, v57, v156
	v_mul_f16_e64 v158, 0xb1e1, v83
	v_add_f16_e32 v25, v26, v25
	v_fma_f16 v26, v45, 0x2de8, -v153
	v_mul_f16_e64 v159, 0xb5c8, v48
	v_mul_f16_e64 v160, 0xbbb2, v70
	;; [unrolled: 1-line block ×4, first 2 shown]
	v_add_f16_e32 v25, v26, v25
	v_fma_f16 v26, v46, 0x39e9, -v155
	v_mul_f16_e64 v164, 0x3964, v75
	v_mul_f16_e64 v167, 0xb1e1, v40
	v_fma_f16 v166, 0x2de8, v54, v163
	v_mul_f16_e64 v168, 0xbb29, v78
	v_add_f16_e32 v25, v26, v25
	v_add_f16_e32 v26, v28, v27
	v_fma_f16 v27, 0x2de8, v58, v157
	v_fma_f16 v28, v50, 0xbbdd, -v158
	v_add_f16_e64 v166, v166, v53
	v_fma_f16 v169, 0xbbdd, v36, v167
	v_mul_f16_e64 v170, 0x3bb2, v37
	v_add_f16_e32 v26, v27, v26
	v_fma_f16 v27, 0x3b76, v59, v159
	v_add_f16_e32 v25, v28, v25
	v_fma_f16 v28, v38, 0xb461, -v160
	v_mul_f16_e64 v171, 0xb1e1, v77
	v_add_f16_e64 v166, v169, v166
	v_add_f16_e32 v26, v27, v26
	v_fma_f16 v169, 0xb461, v55, v170
	v_add_f16_e32 v27, v28, v4
	v_fma_f16 v28, v52, 0xbacd, -v162
	v_mul_f16_e64 v172, 0x35c8, v39
	v_mul_f16_e64 v173, 0x3bf7, v79
	v_add_f16_e64 v166, v169, v166
	v_mul_f16_e64 v174, 0xbb29, v42
	v_add_f16_e32 v27, v28, v27
	v_fma_f16 v28, v41, 0x39e9, -v164
	v_fma_f16 v169, 0x3b76, v56, v172
	v_mul_f16_e64 v165, 0xba62, v47
	v_mul_f16_e64 v175, 0xb5c8, v83
	;; [unrolled: 1-line block ×3, first 2 shown]
	v_add_f16_e32 v27, v28, v27
	v_fma_f16 v28, v44, 0x3722, -v168
	v_add_f16_e64 v166, v169, v166
	v_fma_f16 v169, 0x3722, v57, v174
	v_mul_f16_e64 v177, 0xba62, v84
	v_mul_f16_e64 v178, 0x3a62, v48
	v_add_f16_e32 v27, v28, v27
	v_fma_f16 v28, v45, 0xbbdd, -v171
	v_add_f16_e64 v166, v169, v166
	v_fma_f16 v169, 0xbacd, v58, v176
	v_fma_f16 v179, 0xb8d2, v60, v165
	v_fma_f16 v180, v51, 0xb8d2, -v177
	v_add_f16_e32 v27, v28, v27
	v_fma_f16 v28, v46, 0x2de8, -v173
	v_add_f16_e64 v166, v169, v166
	v_fma_f16 v169, 0xb8d2, v59, v178
	v_mul_f16_e64 v181, 0xb1e1, v74
	v_mul_f16_e64 v184, 0xba62, v40
	v_add_f16_e32 v27, v28, v27
	v_fma_f16 v28, v50, 0x3b76, -v175
	v_add_f16_e64 v166, v169, v166
	v_mul_f16_e64 v169, 0xbb29, v14
	v_fma_f16 v185, v52, 0xbbdd, -v181
	v_mul_f16_e64 v186, 0x3bb2, v75
	v_add_f16_e32 v28, v28, v27
	v_add_f16_e64 v27, v179, v26
	v_mul_f16_e64 v179, 0xbbf7, v70
	v_fma_f16 v183, 0x3722, v54, v169
	v_fma_f16 v187, 0xb8d2, v36, v184
	v_add_f16_e64 v28, v180, v28
	v_mul_f16_e64 v188, 0x31e1, v37
	v_fma_f16 v180, v38, 0x2de8, -v179
	v_add_f16_e64 v183, v183, v53
	v_mul_f16_e64 v189, 0x35c8, v78
	v_mul_f16_e64 v190, 0x3bb2, v39
	;; [unrolled: 1-line block ×3, first 2 shown]
	v_add_f16_e64 v180, v180, v4
	v_add_f16_e64 v183, v187, v183
	v_fma_f16 v187, 0xbbdd, v55, v188
	v_mul_f16_e64 v192, 0x3964, v42
	v_mul_f16_e64 v193, 0xb836, v79
	v_add_f16_e64 v180, v185, v180
	v_fma_f16 v185, v41, 0xb461, -v186
	v_add_f16_e64 v183, v187, v183
	v_fma_f16 v187, 0xb461, v56, v190
	v_mul_f16_e64 v194, 0xb5c8, v43
	v_mul_f16_e64 v195, 0x3a62, v83
	v_add_f16_e64 v180, v185, v180
	v_fma_f16 v185, v44, 0x3b76, -v189
	v_add_f16_e64 v183, v187, v183
	v_fma_f16 v187, 0x39e9, v57, v192
	v_mul_f16_e32 v26, 0x39e9, v60
	v_mul_f16_e64 v196, 0xbbf7, v48
	v_add_f16_e64 v180, v185, v180
	v_fma_f16 v185, v45, 0x3722, -v191
	v_add_f16_e64 v183, v187, v183
	v_fma_f16 v187, 0x3b76, v58, v194
	v_mul_f16_e64 v197, 0x3964, v84
	v_fma_f16 v182, 0x3964, v47, v26
	v_add_f16_e64 v180, v185, v180
	v_fma_f16 v185, v46, 0xbacd, -v193
	v_add_f16_e64 v183, v187, v183
	v_fma_f16 v187, 0x2de8, v59, v196
	v_mul_f16_e64 v198, 0xb836, v47
	v_mul_f16_e64 v199, 0xb964, v70
	v_add_f16_e64 v180, v185, v180
	v_fma_f16 v185, v50, 0xb8d2, -v195
	v_mul_f16_e32 v86, 0x3b76, v54
	v_add_f16_e64 v183, v187, v183
	v_fma_f16 v187, 0xbacd, v60, v198
	v_add_f16_e64 v70, v182, v166
	v_add_f16_e64 v180, v185, v180
	v_fma_f16 v185, v51, 0x39e9, -v197
	v_mul_f16_e32 v74, 0xbbf7, v74
	v_mul_f16_e32 v87, 0x39e9, v36
	v_add_f16_e64 v182, v187, v183
	v_mul_f16_e32 v75, 0xba62, v75
	v_add_f16_e64 v166, v185, v180
	v_fma_f16 v180, v38, 0x39e9, -v199
	v_fma_f16 v187, v52, 0x2de8, -v74
	v_add_f16_e32 v67, v67, v86
	v_mul_f16_e32 v34, 0x3b76, v38
	v_mul_f16_e32 v89, 0x3722, v55
	v_add_f16_e64 v180, v180, v4
	v_mul_f16_e32 v78, 0xb1e1, v78
	v_add_f16_e32 v67, v67, v53
	v_add_f16_e32 v68, v68, v87
	v_alignbit_b32 v30, v85, v85, 16
	v_add_f16_e64 v180, v187, v180
	v_fma_f16 v187, v41, 0xb8d2, -v75
	v_mul_f16_e32 v85, 0x39e9, v52
	v_mul_f16_e32 v91, 0x2de8, v56
	;; [unrolled: 1-line block ×3, first 2 shown]
	v_add_f16_e32 v67, v68, v67
	v_add_f16_e64 v180, v187, v180
	v_fma_f16 v187, v44, 0xbbdd, -v78
	v_add_f16_e32 v68, v69, v89
	v_sub_f16_e32 v34, v34, v61
	v_mul_f16_e32 v88, 0x3722, v41
	v_mul_f16_e32 v92, 0xb461, v57
	v_add_f16_e64 v180, v187, v180
	v_fma_f16 v187, v45, 0xbacd, -v77
	v_mul_f16_e32 v79, 0x3bb2, v79
	v_add_f16_e32 v67, v68, v67
	v_add_f16_e32 v68, v71, v91
	;; [unrolled: 1-line block ×3, first 2 shown]
	v_sub_f16_e32 v62, v85, v62
	v_mul_f16_e32 v90, 0x2de8, v44
	v_mul_f16_e32 v93, 0xb8d2, v58
	v_add_f16_e64 v61, v187, v180
	v_fma_f16 v89, v46, 0xb461, -v79
	v_mul_f16_e32 v71, 0x3b29, v83
	v_add_f16_e32 v67, v68, v67
	v_add_f16_e32 v68, v72, v92
	;; [unrolled: 1-line block ×3, first 2 shown]
	v_sub_f16_e32 v62, v88, v63
	v_mul_f16_e32 v33, 0xb461, v45
	v_mul_f16_e32 v94, 0xbacd, v59
	v_add_f16_e32 v61, v89, v61
	v_fma_f16 v63, v50, 0x3722, -v71
	v_mul_f16_e32 v72, 0x35c8, v84
	v_add_f16_e32 v67, v68, v67
	v_add_f16_e32 v68, v82, v93
	;; [unrolled: 1-line block ×3, first 2 shown]
	v_sub_f16_e32 v62, v90, v65
	v_fma_f16 v65, v54, 0xb8d2, -v147
	v_mul_f16_e32 v31, 0xb8d2, v46
	v_add_f16_e32 v61, v63, v61
	v_fma_f16 v63, v51, 0x3b76, -v72
	v_add_f16_e32 v67, v68, v67
	v_add_f16_e32 v34, v62, v34
	v_sub_f16_e32 v33, v33, v64
	v_add_f16_e32 v62, v81, v94
	v_add_f16_e32 v64, v65, v53
	v_fma_f16 v65, v36, 0xb461, -v148
	v_alignbit_b32 v19, v4, v4, 16
	v_mul_f16_e32 v32, 0xbacd, v50
	v_add_f16_e32 v61, v63, v61
	v_add_f16_e32 v33, v33, v34
	v_sub_f16_e32 v31, v31, v66
	v_add_f16_e32 v34, v62, v67
	v_add_f16_e32 v62, v65, v64
	v_fma_f16 v63, v55, 0x3b76, -v97
	v_sub_f16_e32 v32, v32, v76
	v_add_f16_e32 v31, v31, v33
	v_pk_add_f16 v5, v5, v19 op_sel:[0,1] op_sel_hi:[1,0]
	v_fmac_f16_e32 v101, 0xb8d2, v38
	v_add_f16_e32 v33, v63, v62
	v_fma_f16 v62, v56, 0xbacd, -v95
	v_add_f16_e32 v31, v32, v31
	v_pk_add_f16 v5, v30, v5
	v_fma_f16 v32, v57, 0x2de8, -v99
	v_mul_f16_e32 v100, 0xbbdd, v51
	v_add_f16_e32 v30, v62, v33
	v_add_f16_e32 v62, v101, v4
	v_pk_add_f16 v5, v15, v5
	v_fmac_f16_e64 v144, 0xb461, v52
	v_sub_f16_e32 v33, v100, v73
	v_add_f16_e32 v15, v32, v30
	v_fma_f16 v30, v58, 0x39e9, -v96
	v_pk_add_f16 v5, v12, v5
	v_add_f16_e64 v32, v144, v62
	v_fmac_f16_e64 v146, 0x3b76, v41
	v_fmac_f16_e64 v160, 0xb461, v38
	v_add_f16_e32 v12, v30, v15
	v_fma_f16 v15, v59, 0xbbdd, -v98
	v_fma_f16 v30, v54, 0xb461, -v145
	v_pk_add_f16 v5, v13, v5
	v_mul_f16_e64 v149, 0x3b29, v47
	v_add_f16_e32 v31, v33, v31
	v_add_f16_e32 v12, v15, v12
	;; [unrolled: 1-line block ×3, first 2 shown]
	v_fma_f16 v15, v36, 0xbacd, -v150
	v_add_f16_e64 v32, v146, v32
	v_fmac_f16_e64 v151, 0xbacd, v44
	v_add_f16_e64 v33, v160, v4
	v_fmac_f16_e64 v162, 0xbacd, v52
	v_add_f16_e32 v13, v15, v13
	v_fma_f16 v15, v55, 0x39e9, -v152
	v_add_f16_e64 v30, v151, v32
	v_fma_f16 v32, v60, 0x3722, -v149
	v_add_f16_e64 v33, v162, v33
	v_fmac_f16_e64 v164, 0x39e9, v41
	v_add_f16_e32 v13, v15, v13
	v_fma_f16 v15, v56, 0x3722, -v154
	v_add_f16_e32 v12, v32, v12
	v_fma_f16 v62, v36, 0xbbdd, -v167
	v_add_f16_e64 v32, v164, v33
	v_fma_f16 v33, v54, 0x2de8, -v163
	v_add_f16_e32 v13, v15, v13
	v_fma_f16 v15, v57, 0xbbdd, -v156
	v_fma_f16 v54, v54, 0x3722, -v169
	v_pk_add_f16 v5, v10, v5
	v_add_f16_e32 v33, v33, v53
	v_pk_mul_f16 v183, 0x39e93722, v38
	v_add_f16_e32 v13, v15, v13
	v_fma_f16 v15, v58, 0x2de8, -v157
	v_add_f16_e32 v53, v54, v53
	v_fma_f16 v54, v36, 0xb8d2, -v184
	;; [unrolled: 2-line block ×5, first 2 shown]
	v_fmac_f16_e64 v179, 0x2de8, v38
	v_pk_add_f16 v5, v11, v5
	v_add_f16_e32 v13, v15, v13
	v_fma_f16 v15, v60, 0xb8d2, -v165
	v_add_f16_e32 v53, v54, v53
	v_fma_f16 v54, v56, 0xb461, -v190
	v_pk_mul_f16 v185, 0xba62bbf7, v40
	v_fmac_f16_e64 v181, 0xbbdd, v52
	v_add_f16_e32 v13, v15, v13
	v_add_f16_e32 v15, v62, v33
	v_fma_f16 v33, v56, 0x3b76, -v172
	v_add_f16_e32 v53, v54, v53
	v_fma_f16 v54, v57, 0x39e9, -v192
	v_add_f16_e64 v62, v179, v4
	v_fma_f16 v55, v58, 0xbacd, -v176
	v_add_f16_e32 v15, v33, v15
	v_fma_f16 v33, v57, 0x3722, -v174
	v_add_f16_e32 v53, v54, v53
	v_fma_f16 v54, v58, 0x3b76, -v194
	v_pk_fma_f16 v10, 0xbb29b964, v14, v183 op_sel:[0,0,1] op_sel_hi:[1,1,0] neg_lo:[0,1,0] neg_hi:[0,1,0]
	v_pk_add_f16 v5, v8, v5
	v_add_f16_e32 v15, v33, v15
	v_pk_mul_f16 v200, 0xb8d2bbdd, v41
	v_add_f16_e64 v33, v181, v62
	v_pk_fma_f16 v62, 0xbb29b964, v14, v183 op_sel:[0,0,1] op_sel_hi:[1,1,0]
	v_add_f16_e32 v53, v54, v53
	v_fma_f16 v54, v59, 0x2de8, -v196
	v_add_f16_e32 v15, v55, v15
	v_fma_f16 v55, v59, 0xb8d2, -v178
	v_pk_fma_f16 v59, 0xb8d22de8, v36, v185 neg_lo:[0,0,1] neg_hi:[0,0,1]
	v_add_f16_e32 v67, v10, v19
	v_pk_add_f16 v5, v9, v5
	v_pk_mul_f16 v201, 0xbbddb461, v44
	v_pk_add_f16 v56, v62, v19
	v_pk_fma_f16 v63, 0xb8d22de8, v36, v185
	v_pk_fma_f16 v65, 0x31e1ba62, v37, v200 op_sel:[0,0,1] op_sel_hi:[1,1,0] neg_lo:[0,1,0] neg_hi:[0,1,0]
	v_add_f16_e32 v67, v59, v67
	v_pk_add_f16 v5, v6, v5
	v_bfi_b32 v6, 0xffff, v62, v10
	v_mul_f16_e64 v143, 0xbbdd, v60
	v_pk_mul_f16 v202, 0xbacd39e9, v45
	v_pk_add_f16 v56, v63, v56
	v_pk_fma_f16 v57, 0x31e1ba62, v37, v200 op_sel:[0,0,1] op_sel_hi:[1,1,0]
	v_pk_fma_f16 v11, 0x3bb2b1e1, v39, v201 op_sel:[0,0,1] op_sel_hi:[1,1,0] neg_lo:[0,1,0] neg_hi:[0,1,0]
	v_add_f16_e32 v67, v65, v67
	v_pk_add_f16 v5, v7, v5
	v_pk_add_f16 v6, v6, v19
	v_bfi_b32 v7, 0xffff, v63, v59
	v_pk_mul_f16 v203, 0xb4613b76, v46
	v_add_f16_e64 v64, v80, v143
	v_pk_add_f16 v56, v57, v56
	v_pk_fma_f16 v58, 0x3bb2b1e1, v39, v201 op_sel:[0,0,1] op_sel_hi:[1,1,0]
	v_pk_fma_f16 v66, 0x39643836, v42, v202 op_sel:[0,0,1] op_sel_hi:[1,1,0] neg_lo:[0,1,0] neg_hi:[0,1,0]
	v_add_f16_e32 v10, v11, v67
	v_pk_add_f16 v2, v2, v5
	v_pk_add_f16 v5, v7, v6
	v_bfi_b32 v6, 0xffff, v57, v65
	v_pk_mul_f16 v86, 0x37222de8, v50
	v_add_f16_e32 v34, v64, v34
	v_pk_add_f16 v56, v58, v56
	v_pk_fma_f16 v64, 0x39643836, v42, v202 op_sel:[0,0,1] op_sel_hi:[1,1,0]
	v_pk_fma_f16 v8, 0xb5c83bb2, v43, v203 op_sel:[0,0,1] op_sel_hi:[1,1,0] neg_lo:[0,1,0] neg_hi:[0,1,0]
	v_add_f16_e32 v10, v66, v10
	v_pk_add_f16 v2, v3, v2
	v_pk_add_f16 v3, v6, v5
	v_bfi_b32 v5, 0xffff, v58, v11
	v_fma_f16 v29, 0x3722, v60, v149
	v_pk_mul_f16 v87, 0x3b76bacd, v51
	v_add_f16_e32 v53, v54, v53
	v_fma_f16 v54, v60, 0xbacd, -v198
	v_pk_add_f16 v56, v64, v56
	v_pk_fma_f16 v60, 0xb5c83bb2, v43, v203 op_sel:[0,0,1] op_sel_hi:[1,1,0]
	v_fmac_f16_e32 v74, 0x2de8, v52
	v_pk_fma_f16 v52, 0xbbf73b29, v48, v86 op_sel:[0,0,1] op_sel_hi:[1,1,0] neg_lo:[0,1,0] neg_hi:[0,1,0]
	v_add_f16_e32 v7, v8, v10
	v_pk_add_f16 v0, v0, v2
	v_pk_add_f16 v2, v5, v3
	v_bfi_b32 v3, 0xffff, v64, v66
	v_add_f16_e32 v53, v54, v53
	v_pk_add_f16 v54, v60, v56
	v_pk_fma_f16 v56, 0xbbf73b29, v48, v86 op_sel:[0,0,1] op_sel_hi:[1,1,0]
	v_pk_fma_f16 v9, 0xb83635c8, v47, v87 op_sel:[0,0,1] op_sel_hi:[1,1,0] neg_lo:[0,1,0] neg_hi:[0,1,0]
	v_add_f16_e32 v6, v52, v7
	v_pk_add_f16 v0, v1, v0
	v_pk_add_f16 v1, v3, v2
	v_bfi_b32 v2, 0xffff, v60, v8
	v_fmac_f16_e64 v199, 0x39e9, v38
	v_add_f16_e32 v5, v9, v6
	v_pk_mul_f16 v6, 0xbbdd, v38 op_sel_hi:[0,1]
	v_pk_fma_f16 v8, 0xb83635c8, v47, v87 op_sel:[0,0,1] op_sel_hi:[1,1,0]
	v_pk_add_f16 v1, v2, v1
	v_bfi_b32 v2, 0xffff, v56, v52
	v_add_f16_e64 v4, v199, v4
	v_pk_fma_f16 v10, 0xb1e1, v14, v6 op_sel:[0,0,1] op_sel_hi:[0,1,0] neg_lo:[0,1,0] neg_hi:[0,1,0]
	v_pk_mul_f16 v11, 0x35c8, v40 op_sel_hi:[0,1]
	v_fmac_f16_e32 v75, 0xb8d2, v41
	v_pk_add_f16 v1, v2, v1
	v_pk_fma_f16 v2, 0xb1e1, v14, v6 op_sel:[0,0,1] op_sel_hi:[0,1,0]
	v_add_f16_e32 v4, v74, v4
	v_bfi_b32 v6, 0xffff, v8, v9
	v_pk_add_f16 v8, v10, v19
	v_pk_fma_f16 v9, 0x3b76, v36, v11 op_sel_hi:[0,1,1] neg_lo:[0,0,1] neg_hi:[0,0,1]
	v_pk_mul_f16 v10, 0xbacd, v41 op_sel_hi:[0,1]
	v_pk_add_f16 v2, v2, v19
	v_pk_fma_f16 v11, 0x3b76, v36, v11 op_sel_hi:[0,1,1]
	v_add_f16_e32 v4, v75, v4
	v_fmac_f16_e32 v78, 0xbbdd, v44
	v_pk_add_f16 v1, v6, v1
	v_pk_add_f16 v6, v9, v8
	v_pk_fma_f16 v8, 0xb836, v37, v10 op_sel:[0,0,1] op_sel_hi:[0,1,0] neg_lo:[0,1,0] neg_hi:[0,1,0]
	v_pk_mul_f16 v9, 0x39e9, v44 op_sel_hi:[0,1]
	v_pk_add_f16 v2, v11, v2
	v_pk_fma_f16 v10, 0xb836, v37, v10 op_sel:[0,0,1] op_sel_hi:[0,1,0]
	v_mul_f16_e64 v161, 0x3b29, v84
	v_fmac_f16_e64 v186, 0xb461, v41
	v_add_f16_e32 v4, v78, v4
	v_fmac_f16_e32 v77, 0xbacd, v45
	v_pk_add_f16 v6, v8, v6
	v_pk_fma_f16 v8, 0x3964, v39, v9 op_sel:[0,0,1] op_sel_hi:[0,1,0] neg_lo:[0,1,0] neg_hi:[0,1,0]
	v_pk_mul_f16 v14, 0xb8d2, v45 op_sel_hi:[0,1]
	v_pk_add_f16 v2, v10, v2
	v_pk_fma_f16 v9, 0x3964, v39, v9 op_sel:[0,0,1] op_sel_hi:[0,1,0]
	v_fmac_f16_e64 v168, 0x3722, v44
	v_add_f16_e32 v24, v29, v24
	v_fma_f16 v29, v51, 0x3722, -v161
	v_add_f16_e64 v33, v186, v33
	v_fmac_f16_e64 v189, 0x3b76, v44
	v_add_f16_e32 v4, v77, v4
	v_fmac_f16_e32 v79, 0xb461, v46
	v_pk_add_f16 v6, v8, v6
	v_pk_fma_f16 v8, 0xba62, v42, v14 op_sel:[0,0,1] op_sel_hi:[0,1,0] neg_lo:[0,1,0] neg_hi:[0,1,0]
	v_pk_mul_f16 v10, 0x3722, v46 op_sel_hi:[0,1]
	v_pk_add_f16 v2, v9, v2
	v_pk_fma_f16 v9, 0xba62, v42, v14 op_sel:[0,0,1] op_sel_hi:[0,1,0]
	v_fmac_f16_e64 v153, 0x2de8, v45
	v_add_f16_e64 v32, v168, v32
	v_fmac_f16_e64 v171, 0xbbdd, v45
	v_add_f16_e32 v25, v29, v25
	v_mul_f16_e32 v29, 0x3964, v47
	v_add_f16_e64 v33, v189, v33
	v_fmac_f16_e64 v191, 0x3722, v45
	v_add_f16_e32 v4, v79, v4
	v_fmac_f16_e32 v71, 0x3722, v50
	v_pk_add_f16 v6, v8, v6
	v_pk_fma_f16 v8, 0x3b29, v43, v10 op_sel:[0,0,1] op_sel_hi:[0,1,0] neg_lo:[0,1,0] neg_hi:[0,1,0]
	v_pk_mul_f16 v19, 0xb461, v50 op_sel_hi:[0,1]
	v_pk_add_f16 v2, v9, v2
	v_pk_fma_f16 v9, 0x3b29, v43, v10 op_sel:[0,0,1] op_sel_hi:[0,1,0]
	v_add_f16_e64 v30, v153, v30
	v_fmac_f16_e64 v155, 0x39e9, v46
	v_add_f16_e64 v32, v171, v32
	v_fmac_f16_e64 v173, 0x2de8, v46
	v_pk_mul_f16 v69, 0xb83635c8, v47
	v_add_f16_e64 v33, v191, v33
	v_fmac_f16_e64 v193, 0xbacd, v46
	v_add_f16_e32 v4, v71, v4
	v_fmac_f16_e32 v72, 0x3b76, v51
	v_pack_b32_f16 v14, v28, v27
	v_pk_add_f16 v6, v8, v6
	v_pk_fma_f16 v8, 0xbbb2, v48, v19 op_sel:[0,0,1] op_sel_hi:[0,1,0] neg_lo:[0,1,0] neg_hi:[0,1,0]
	v_pk_mul_f16 v27, 0x2de8, v51 op_sel_hi:[0,1]
	v_pk_add_f16 v2, v9, v2
	v_pk_fma_f16 v9, 0xbbb2, v48, v19 op_sel:[0,0,1] op_sel_hi:[0,1,0]
	v_pack_b32_f16 v19, v23, v22
	v_bfi_b32 v22, 0xffff, v29, v54
	v_add_f16_e64 v30, v155, v30
	v_fmac_f16_e64 v158, 0xbbdd, v50
	v_add_f16_e64 v32, v173, v32
	v_fmac_f16_e64 v175, 0x3b76, v50
	;; [unrolled: 2-line block ×3, first 2 shown]
	v_add_f16_e32 v3, v72, v4
	v_mul_u32_u24_e32 v4, 17, v49
	v_pk_add_f16 v6, v8, v6
	v_pk_fma_f16 v8, 0x3bf7, v47, v27 op_sel:[0,0,1] op_sel_hi:[0,1,0] neg_lo:[0,1,0] neg_hi:[0,1,0]
	v_pk_add_f16 v2, v9, v2
	v_pk_fma_f16 v9, 0x3bf7, v47, v27 op_sel:[0,0,1] op_sel_hi:[0,1,0]
	v_pk_add_f16 v22, v26, v22 neg_lo:[0,1] neg_hi:[0,1]
	v_pk_add_f16 v23, v56, v54
	v_pack_b32_f16 v26, v55, v87
	v_bfi_b32 v15, 0xffff, v15, v69
	v_add_f16_e64 v30, v158, v30
	v_fmac_f16_e64 v161, 0x3722, v51
	v_add_f16_e64 v32, v175, v32
	v_fmac_f16_e64 v177, 0xb8d2, v51
	;; [unrolled: 2-line block ×3, first 2 shown]
	v_lshlrev_b32_e32 v4, 2, v4
	v_pk_add_f16 v0, v35, v0
	v_pack_b32_f16 v7, v31, v34
	v_pk_add_f16 v6, v8, v6
	v_pk_add_f16 v2, v9, v2
	v_bfi_b32 v8, 0xffff, v22, v23
	v_pk_add_f16 v9, v26, v15
	v_alignbit_b32 v11, v182, v1, 16
	v_pack_b32_f16 v1, v61, v1
	v_pack_b32_f16 v10, v166, v70
	v_add_f16_e64 v30, v161, v30
	v_pack_b32_f16 v24, v25, v24
	v_add_f16_e64 v32, v177, v32
	v_add_f16_e64 v33, v197, v33
	ds_store_2addr_b32 v4, v0, v7 offset1:1
	ds_store_2addr_b32 v4, v1, v11 offset0:2 offset1:3
	ds_store_2addr_b32 v4, v10, v14 offset0:4 offset1:5
	;; [unrolled: 1-line block ×3, first 2 shown]
	v_pk_add_f16 v1, v8, v9
	v_alignbit_b32 v0, v6, v2, 16
	v_alignbit_b32 v2, v2, v6, 16
	v_pack_b32_f16 v6, v30, v12
	v_pack_b32_f16 v7, v21, v20
	;; [unrolled: 1-line block ×3, first 2 shown]
	v_alignbit_b32 v9, v53, v1, 16
	v_pack_b32_f16 v1, v33, v1
	v_pack_b32_f16 v3, v3, v5
	v_perm_b32 v5, v140, v139, 0x5040100
	ds_store_2addr_b32 v4, v2, v0 offset0:8 offset1:9
	ds_store_2addr_b32 v4, v7, v6 offset0:10 offset1:11
	ds_store_b32 v4, v8 offset:48
	ds_store_2addr_b32 v4, v1, v9 offset0:13 offset1:14
	ds_store_2addr_b32 v4, v3, v5 offset0:15 offset1:16
.LBB0_7:
	s_wait_alu 0xfffe
	s_or_b32 exec_lo, exec_lo, s2
	v_add_co_u32 v55, null, 0xff, v130
	v_and_b32_e32 v0, 0xff, v130
	v_add_co_u32 v50, null, 0x66, v130
	v_add_co_u32 v51, null, 0x99, v130
	;; [unrolled: 1-line block ×3, first 2 shown]
	v_and_b32_e32 v1, 0xff, v49
	v_and_b32_e32 v3, 0xffff, v55
	v_mul_lo_u16 v0, 0xf1, v0
	v_and_b32_e32 v10, 0xff, v50
	v_and_b32_e32 v2, 0xff, v51
	v_mul_lo_u16 v1, 0xf1, v1
	v_and_b32_e32 v5, 0xff, v53
	v_mul_u32_u24_e32 v3, 0xf0f1, v3
	v_lshrrev_b16 v11, 12, v0
	v_mul_lo_u16 v4, 0xf1, v10
	v_mul_lo_u16 v2, 0xf1, v2
	v_lshrrev_b16 v48, 12, v1
	v_mul_lo_u16 v1, 0xf1, v5
	v_lshrrev_b32_e32 v15, 20, v3
	v_mul_lo_u16 v0, v11, 17
	v_lshrrev_b16 v47, 12, v4
	v_lshrrev_b16 v44, 12, v2
	v_mul_lo_u16 v2, v48, 17
	v_lshrrev_b16 v43, 12, v1
	v_mul_lo_u16 v1, v15, 17
	v_sub_nc_u16 v12, v130, v0
	v_mul_lo_u16 v3, v47, 17
	v_sub_nc_u16 v2, v49, v2
	;; [unrolled: 2-line block ×3, first 2 shown]
	v_mul_lo_u16 v4, v44, 17
	v_lshlrev_b16 v0, 1, v12
	v_add_co_u32 v57, null, 0x132, v130
	v_sub_nc_u16 v3, v50, v3
	v_and_b32_e32 v52, 0xff, v2
	v_sub_nc_u16 v1, v53, v5
	v_lshlrev_b16 v2, 1, v41
	v_sub_nc_u16 v4, v51, v4
	v_add_co_u32 v59, null, 0x165, v130
	v_and_b32_e32 v0, 0xfe, v0
	v_and_b32_e32 v46, 0xff, v3
	;; [unrolled: 1-line block ×6, first 2 shown]
	v_add_co_u32 v61, null, 0x198, v130
	v_lshlrev_b32_e32 v0, 2, v0
	v_and_b32_e32 v6, 0xffff, v59
	v_add_co_u32 v63, null, 0x1cb, v130
	v_lshlrev_b32_e32 v3, 3, v52
	v_add_co_u32 v65, null, 0x1fe, v130
	v_lshlrev_b32_e32 v4, 3, v46
	v_mul_u32_u24_e32 v2, 0xf0f1, v2
	v_lshlrev_b32_e32 v5, 3, v45
	global_wb scope:SCOPE_SE
	s_wait_storecnt_dscnt 0x0
	s_barrier_signal -1
	s_barrier_wait -1
	global_inv scope:SCOPE_SE
	s_clause 0x3
	global_load_b64 v[31:32], v0, s[0:1]
	global_load_b64 v[27:28], v3, s[0:1]
	;; [unrolled: 1-line block ×4, first 2 shown]
	v_mul_u32_u24_e32 v3, 0xf0f1, v6
	v_and_b32_e32 v4, 0xffff, v61
	v_and_b32_e32 v5, 0xffff, v63
	v_lshrrev_b32_e32 v62, 20, v2
	v_and_b32_e32 v2, 0xffff, v65
	v_lshrrev_b32_e32 v66, 20, v3
	v_mul_u32_u24_e32 v3, 0xf0f1, v4
	v_mul_u32_u24_e32 v4, 0xf0f1, v5
	v_lshlrev_b32_e32 v0, 3, v42
	v_mul_u32_u24_e32 v2, 0xf0f1, v2
	v_lshlrev_b32_e32 v1, 2, v1
	v_lshrrev_b32_e32 v64, 20, v3
	v_mul_lo_u16 v5, v62, 17
	v_mul_lo_u16 v6, v66, 17
	v_lshrrev_b32_e32 v58, 20, v4
	v_lshrrev_b32_e32 v54, 20, v2
	s_clause 0x1
	global_load_b64 v[37:38], v0, s[0:1]
	global_load_b64 v[39:40], v1, s[0:1]
	v_mul_lo_u16 v0, v64, 17
	v_sub_nc_u16 v69, v57, v5
	v_sub_nc_u16 v68, v59, v6
	v_mul_lo_u16 v2, v58, 17
	v_mul_lo_u16 v3, v54, 17
	v_sub_nc_u16 v67, v61, v0
	v_lshlrev_b16 v4, 1, v69
	v_lshlrev_b16 v0, 1, v68
	v_sub_nc_u16 v60, v63, v2
	v_sub_nc_u16 v56, v65, v3
	v_lshlrev_b16 v3, 1, v67
	v_and_b32_e32 v2, 0xffff, v4
	v_and_b32_e32 v0, 0xffff, v0
	v_lshlrev_b16 v4, 1, v60
	v_lshlrev_b16 v5, 1, v56
	v_and_b32_e32 v3, 0xffff, v3
	v_lshlrev_b32_e32 v2, 2, v2
	v_lshlrev_b32_e32 v0, 2, v0
	v_and_b32_e32 v4, 0xffff, v4
	v_and_b32_e32 v5, 0xffff, v5
	v_lshlrev_b32_e32 v1, 2, v3
	s_clause 0x1
	global_load_b64 v[35:36], v2, s[0:1]
	global_load_b64 v[33:34], v0, s[0:1]
	v_lshlrev_b32_e32 v2, 2, v4
	v_lshlrev_b32_e32 v0, 2, v5
	s_clause 0x2
	global_load_b64 v[29:30], v1, s[0:1]
	global_load_b64 v[25:26], v2, s[0:1]
	;; [unrolled: 1-line block ×3, first 2 shown]
	v_add_nc_u32_e32 v87, 0x600, v102
	v_add_nc_u32_e32 v86, 0x1000, v102
	;; [unrolled: 1-line block ×3, first 2 shown]
	ds_load_2addr_b32 v[74:75], v102 offset1:51
	ds_load_2addr_b32 v[8:9], v102 offset0:102 offset1:153
	ds_load_2addr_b32 v[6:7], v102 offset0:204 offset1:255
	v_add_nc_u32_e32 v84, 0x1400, v102
	v_add_nc_u32_e32 v89, 0xc00, v102
	;; [unrolled: 1-line block ×5, first 2 shown]
	ds_load_b32 v85, v102 offset:6528
	ds_load_2addr_b32 v[0:1], v87 offset0:126 offset1:177
	ds_load_2addr_b32 v[76:77], v86 offset0:98 offset1:149
	ds_load_2addr_b32 v[78:79], v88 offset0:100 offset1:151
	ds_load_2addr_b32 v[80:81], v86 offset0:200 offset1:251
	ds_load_2addr_b32 v[82:83], v88 offset0:202 offset1:253
	ds_load_2addr_b32 v[93:94], v84 offset0:46 offset1:97
	ds_load_2addr_b32 v[95:96], v89 offset0:48 offset1:99
	ds_load_2addr_b32 v[4:5], v91 offset0:50 offset1:101
	ds_load_2addr_b32 v[97:98], v84 offset0:148 offset1:199
	ds_load_2addr_b32 v[99:100], v89 offset0:150 offset1:201
	ds_load_2addr_b32 v[2:3], v91 offset0:152 offset1:203
	ds_load_2addr_b32 v[157:158], v92 offset0:122 offset1:173
	ds_load_2addr_b32 v[171:172], v90 offset0:124 offset1:175
	v_mad_u16 v11, v11, 51, v12
	v_and_b32_e32 v48, 0xffff, v48
	v_and_b32_e32 v47, 0xffff, v47
	v_lshlrev_b32_e32 v51, 3, v51
	v_lshlrev_b32_e32 v53, 3, v53
	v_and_b32_e32 v11, 0xff, v11
	s_wait_dscnt 0xd
	v_lshrrev_b32_e32 v152, 16, v85
	s_wait_dscnt 0xc
	v_lshrrev_b32_e32 v174, 16, v1
	;; [unrolled: 2-line block ×7, first 2 shown]
	v_lshrrev_b32_e32 v178, 16, v79
	v_lshrrev_b32_e32 v179, 16, v80
	;; [unrolled: 1-line block ×4, first 2 shown]
	s_wait_dscnt 0x6
	v_lshrrev_b32_e32 v186, 16, v96
	s_wait_dscnt 0x4
	v_lshrrev_b32_e32 v187, 16, v97
	;; [unrolled: 2-line block ×4, first 2 shown]
	v_lshrrev_b32_e32 v193, 16, v158
	v_lshrrev_b32_e32 v101, 16, v74
	;; [unrolled: 1-line block ×18, first 2 shown]
	v_mul_u32_u24_e32 v48, 51, v48
	v_lshlrev_b32_e32 v55, 3, v55
	v_lshlrev_b32_e32 v57, 3, v57
	;; [unrolled: 1-line block ×6, first 2 shown]
	s_wait_loadcnt 0xa
	v_lshrrev_b32_e32 v118, 16, v31
	v_lshrrev_b32_e32 v116, 16, v32
	s_wait_loadcnt 0x8
	v_lshrrev_b32_e32 v109, 16, v23
	v_lshrrev_b32_e32 v107, 16, v24
	;; [unrolled: 3-line block ×3, first 2 shown]
	v_lshrrev_b32_e32 v113, 16, v27
	v_mul_f16_e64 v204, v79, v109
	v_mul_f16_e64 v206, v80, v107
	;; [unrolled: 1-line block ×5, first 2 shown]
	v_lshrrev_b32_e32 v111, 16, v28
	v_mul_f16_e64 v195, v174, v118
	v_mul_f16_e64 v196, v1, v118
	;; [unrolled: 1-line block ×7, first 2 shown]
	s_wait_loadcnt 0x6
	v_lshrrev_b32_e32 v159, 16, v38
	v_lshrrev_b32_e32 v170, 16, v37
	v_fmac_f16_e64 v204, v178, v23
	v_fmac_f16_e64 v206, v179, v24
	v_fma_f16 v82, v82, v19, -v207
	v_mul_f16_e64 v213, v183, v159
	v_mul_f16_e64 v211, v182, v170
	;; [unrolled: 1-line block ×3, first 2 shown]
	v_fma_f16 v81, v81, v20, -v209
	v_fmac_f16_e64 v210, v181, v20
	v_fma_f16 v93, v93, v38, -v213
	v_mul_f16_e64 v198, v76, v116
	v_mul_f16_e64 v200, v78, v113
	;; [unrolled: 1-line block ×4, first 2 shown]
	s_wait_loadcnt 0x5
	v_lshrrev_b32_e32 v103, 16, v39
	v_lshrrev_b32_e32 v173, 16, v40
	v_fma_f16 v1, v1, v31, -v195
	v_fmac_f16_e64 v196, v174, v31
	v_fma_f16 v76, v76, v32, -v197
	v_fma_f16 v78, v78, v27, -v199
	;; [unrolled: 1-line block ×4, first 2 shown]
	s_wait_loadcnt 0x4
	v_lshrrev_b32_e32 v168, 16, v35
	v_lshrrev_b32_e32 v166, 16, v36
	s_wait_loadcnt 0x3
	v_lshrrev_b32_e32 v164, 16, v33
	v_lshrrev_b32_e32 v163, 16, v34
	s_wait_loadcnt 0x2
	v_lshrrev_b32_e32 v161, 16, v29
	s_wait_loadcnt 0x1
	v_lshrrev_b32_e32 v18, 16, v25
	v_lshrrev_b32_e32 v156, 16, v26
	;; [unrolled: 1-line block ×3, first 2 shown]
	s_wait_loadcnt 0x0
	v_lshrrev_b32_e32 v155, 16, v21
	v_lshrrev_b32_e32 v154, 16, v22
	v_mul_f16_e64 v179, v96, v168
	v_mul_f16_e64 v181, v97, v166
	;; [unrolled: 1-line block ×4, first 2 shown]
	v_fmac_f16_e64 v208, v180, v19
	v_fma_f16 v83, v83, v37, -v211
	v_fmac_f16_e64 v214, v183, v38
	v_mul_f16_e64 v178, v186, v168
	v_mul_f16_e64 v180, v187, v166
	;; [unrolled: 1-line block ×10, first 2 shown]
	v_fmac_f16_e64 v179, v186, v35
	v_fmac_f16_e64 v181, v187, v36
	;; [unrolled: 1-line block ×4, first 2 shown]
	v_add_f16_e64 v192, v204, v206
	v_add_f16_e64 v193, v9, v82
	v_mul_f16_e64 v202, v77, v111
	v_fmac_f16_e64 v198, v175, v32
	v_fmac_f16_e64 v200, v176, v27
	v_fma_f16 v77, v77, v28, -v201
	v_fmac_f16_e64 v212, v182, v37
	v_mul_f16_e64 v174, v184, v103
	v_mul_f16_e64 v175, v95, v103
	;; [unrolled: 1-line block ×9, first 2 shown]
	v_fma_f16 v96, v96, v35, -v178
	v_fma_f16 v97, v97, v36, -v180
	v_fmac_f16_e64 v183, v188, v33
	v_fmac_f16_e64 v197, v189, v34
	v_fma_f16 v100, v100, v29, -v199
	v_fmac_f16_e64 v205, v191, v30
	v_fmac_f16_e64 v216, v194, v21
	;; [unrolled: 1-line block ×3, first 2 shown]
	v_add_f16_e64 v152, v74, v1
	v_add_f16_e64 v178, v101, v196
	;; [unrolled: 1-line block ×6, first 2 shown]
	v_sub_f16_e32 v82, v82, v81
	v_fmac_f16_e64 v165, -0.5, v192
	v_add_f16_e64 v81, v193, v81
	v_sub_f16_e64 v192, v179, v181
	v_add_f16_e64 v193, v72, v179
	v_add_f16_e64 v179, v179, v181
	v_fmac_f16_e64 v202, v177, v28
	v_mul_f16_e64 v177, v94, v173
	v_fma_f16 v95, v95, v39, -v174
	v_fmac_f16_e64 v175, v184, v39
	v_fma_f16 v94, v94, v40, -v176
	v_fma_f16 v99, v99, v33, -v182
	;; [unrolled: 1-line block ×3, first 2 shown]
	v_add_f16_e64 v174, v1, v76
	v_sub_f16_e64 v176, v196, v198
	v_add_f16_e64 v180, v196, v198
	v_sub_f16_e32 v1, v1, v76
	v_add_f16_e64 v184, v78, v77
	v_add_f16_e64 v186, v162, v200
	;; [unrolled: 1-line block ×3, first 2 shown]
	v_sub_f16_e64 v195, v208, v210
	v_add_f16_e64 v196, v167, v208
	v_add_f16_e64 v208, v212, v214
	;; [unrolled: 1-line block ×4, first 2 shown]
	v_fma_f16 v8, -0.5, v189, v8
	v_add_f16_e64 v178, v191, v206
	v_fmac_f16_e64 v167, -0.5, v199
	v_add_f16_e64 v189, v4, v96
	v_add_f16_e64 v191, v96, v97
	v_sub_f16_e32 v96, v96, v97
	v_sub_f16_e64 v198, v183, v197
	v_add_f16_e64 v199, v71, v183
	v_add_f16_e64 v183, v183, v197
	v_fmac_f16_e64 v72, -0.5, v179
	v_fmac_f16_e64 v177, v185, v40
	v_fmac_f16_e64 v201, v190, v29
	v_fma_f16 v157, v157, v30, -v203
	v_fma_f16 v171, v171, v25, -v207
	v_add_f16_e64 v182, v75, v78
	v_sub_f16_e64 v185, v200, v202
	v_add_f16_e64 v187, v200, v202
	v_add_f16_e64 v200, v6, v83
	;; [unrolled: 1-line block ×4, first 2 shown]
	v_sub_f16_e32 v83, v83, v93
	v_fma_f16 v74, -0.5, v174, v74
	v_fmac_f16_e64 v75, -0.5, v184
	v_add_f16_e64 v174, v186, v202
	v_fmac_f16_e64 v169, -0.5, v208
	v_add_f16_e64 v184, v7, v95
	v_add_f16_e64 v186, v95, v94
	v_fmac_f16_e64 v71, -0.5, v183
	v_fma_f16 v183, 0xbaee, v96, v72
	v_fmac_f16_e32 v72, 0x3aee, v96
	v_sub_f16_e32 v96, v99, v98
	v_sub_f16_e32 v79, v79, v80
	v_fmac_f16_e64 v162, -0.5, v187
	v_add_f16_e64 v80, v188, v80
	v_sub_f16_e64 v187, v175, v177
	v_add_f16_e64 v188, v73, v175
	v_fma_f16 v202, 0xbaee, v83, v169
	v_fmac_f16_e64 v169, 0x3aee, v83
	v_add_f16_e64 v83, v184, v94
	v_fmac_f16_e64 v7, -0.5, v186
	v_add_f16_e64 v184, v100, v157
	v_fma_f16 v186, 0xbaee, v96, v71
	v_fmac_f16_e32 v71, 0x3aee, v96
	v_add_f16_e64 v96, v201, v205
	v_sub_f16_e32 v95, v95, v94
	v_add_f16_e64 v94, v188, v177
	v_fma_f16 v179, 0x3aee, v187, v7
	v_fmac_f16_e64 v7, 0xbaee, v187
	v_add_f16_e64 v187, v2, v100
	v_fma_f16 v2, -0.5, v184, v2
	v_sub_f16_e64 v184, v201, v205
	v_add_f16_e64 v188, v70, v201
	v_fmac_f16_e32 v70, -0.5, v96
	v_sub_f16_e64 v96, v100, v157
	v_fma_f16 v158, v158, v26, -v211
	v_fma_f16 v172, v172, v21, -v215
	v_add_f16_e64 v97, v189, v97
	v_fma_f16 v100, 0x3aee, v184, v2
	v_fmac_f16_e64 v2, 0xbaee, v184
	v_add_f16_e64 v184, v188, v205
	v_fma_f16 v188, 0xbaee, v96, v70
	v_add_f16_e64 v189, v3, v171
	v_fmac_f16_e32 v70, 0x3aee, v96
	v_add_f16_e64 v96, v209, v213
	v_fma_f16 v85, v85, v22, -v217
	v_fmac_f16_e64 v101, -0.5, v180
	v_fmac_f16_e64 v9, -0.5, v194
	v_add_f16_e64 v175, v175, v177
	v_add_f16_e64 v194, v5, v99
	v_fma_f16 v4, -0.5, v191, v4
	v_add_f16_e64 v187, v187, v157
	v_add_f16_e64 v157, v171, v158
	v_add_f16_e64 v189, v189, v158
	v_add_f16_e64 v191, v14, v209
	v_fmac_f16_e32 v14, -0.5, v96
	v_sub_f16_e64 v96, v171, v158
	v_add_f16_e64 v158, v0, v172
	v_add_f16_e64 v93, v200, v93
	v_fma_f16 v200, 0x3aee, v176, v74
	v_fmac_f16_e64 v74, 0xbaee, v176
	v_fma_f16 v176, 0xbaee, v1, v101
	v_fmac_f16_e64 v73, -0.5, v175
	v_add_f16_e64 v177, v194, v98
	v_fmac_f16_e64 v3, -0.5, v157
	v_sub_f16_e64 v157, v209, v213
	v_add_f16_e64 v194, v158, v85
	v_add_f16_e64 v158, v13, v216
	v_sub_f16_e32 v78, v78, v77
	v_add_f16_e64 v180, v196, v210
	v_add_f16_e64 v196, v99, v98
	;; [unrolled: 1-line block ×3, first 2 shown]
	v_fma_f16 v181, 0xbaee, v95, v73
	v_fmac_f16_e32 v73, 0x3aee, v95
	v_fma_f16 v95, 0x3aee, v192, v4
	v_fmac_f16_e64 v4, 0xbaee, v192
	v_add_f16_e64 v99, v199, v197
	v_fma_f16 v192, 0x3aee, v157, v3
	v_fmac_f16_e64 v3, 0xbaee, v157
	v_add_f16_e64 v157, v172, v85
	v_add_f16_e64 v197, v158, v218
	v_lshlrev_b32_e32 v158, 2, v11
	v_pack_b32_f16 v11, v76, v152
	v_pack_b32_f16 v76, v200, v176
	v_sub_f16_e64 v190, v204, v206
	v_fmac_f16_e32 v101, 0x3aee, v1
	s_clause 0xb
	scratch_store_b64 off, v[27:28], off offset:40
	scratch_store_b64 off, v[29:30], off offset:48
	;; [unrolled: 1-line block ×10, first 2 shown]
	scratch_store_b32 off, v18, off offset:108
	scratch_store_b64 off, v[35:36], off offset:76
	v_add_f16_e64 v77, v182, v77
	v_fma_f16 v1, 0x3aee, v185, v75
	v_fmac_f16_e64 v75, 0xbaee, v185
	v_fma_f16 v185, 0xbaee, v78, v162
	v_fma_f16 v193, 0xbaee, v96, v14
	v_fmac_f16_e32 v14, 0x3aee, v96
	v_add_f16_e64 v96, v216, v218
	v_fmac_f16_e64 v0, -0.5, v157
	v_sub_f16_e64 v157, v216, v218
	global_wb scope:SCOPE_SE
	s_wait_storecnt 0x0
	s_barrier_signal -1
	s_barrier_wait -1
	global_inv scope:SCOPE_SE
	ds_store_2addr_b32 v158, v11, v76 offset1:17
	v_and_b32_e32 v11, 0xffff, v44
	v_fmac_f16_e64 v162, 0x3aee, v78
	v_fma_f16 v78, 0x3aee, v190, v8
	v_fmac_f16_e64 v8, 0xbaee, v190
	v_fma_f16 v190, 0xbaee, v79, v165
	v_fmac_f16_e64 v165, 0x3aee, v79
	v_pack_b32_f16 v74, v74, v101
	v_mul_u32_u24_e32 v44, 51, v47
	v_fma_f16 v79, 0x3aee, v195, v9
	v_fmac_f16_e64 v9, 0xbaee, v195
	v_fma_f16 v195, 0xbaee, v82, v167
	v_fmac_f16_e32 v13, -0.5, v96
	v_fma_f16 v96, 0x3aee, v157, v0
	v_fmac_f16_e64 v0, 0xbaee, v157
	v_add_lshl_u32 v157, v48, v52, 2
	v_pack_b32_f16 v48, v77, v174
	v_pack_b32_f16 v1, v1, v185
	v_mul_u32_u24_e32 v11, 51, v11
	v_fmac_f16_e64 v167, 0x3aee, v82
	ds_store_b32 v158, v74 offset:136
	ds_store_2addr_b32 v157, v48, v1 offset1:17
	v_pack_b32_f16 v1, v75, v162
	v_add_lshl_u32 v171, v44, v46, 2
	v_pack_b32_f16 v8, v8, v165
	v_sub_f16_e64 v204, v212, v214
	v_fma_f16 v6, -0.5, v203, v6
	v_pack_b32_f16 v44, v80, v178
	v_pack_b32_f16 v46, v78, v190
	v_add_lshl_u32 v162, v11, v45, 2
	v_and_b32_e32 v11, 0xffff, v43
	v_pack_b32_f16 v43, v81, v180
	v_pack_b32_f16 v45, v79, v195
	ds_store_b32 v157, v1 offset:136
	ds_store_2addr_b32 v171, v44, v46 offset1:17
	ds_store_b32 v171, v8 offset:136
	ds_store_2addr_b32 v162, v43, v45 offset1:17
	v_pack_b32_f16 v8, v9, v167
	v_mad_u16 v9, v15, 51, v41
	v_add_f16_e64 v182, v207, v214
	v_fma_f16 v82, 0x3aee, v204, v6
	v_mul_u32_u24_e32 v1, 51, v11
	v_fmac_f16_e64 v6, 0xbaee, v204
	v_and_b32_e32 v9, 0xffff, v9
	v_mad_u16 v15, v62, 51, v69
	v_pack_b32_f16 v11, v82, v202
	v_add_lshl_u32 v165, v1, v42, 2
	v_pack_b32_f16 v1, v93, v182
	v_pack_b32_f16 v6, v6, v169
	ds_store_b32 v162, v8 offset:136
	ds_store_2addr_b32 v165, v1, v11 offset1:17
	ds_store_b32 v165, v6 offset:136
	v_lshlrev_b32_e32 v169, 2, v9
	v_pack_b32_f16 v6, v83, v94
	v_pack_b32_f16 v8, v179, v181
	v_and_b32_e32 v1, 0xffff, v15
	v_fmac_f16_e64 v5, -0.5, v196
	v_mad_u16 v9, v66, 51, v68
	v_pack_b32_f16 v7, v7, v73
	ds_store_2addr_b32 v169, v6, v8 offset1:17
	v_mad_u16 v8, v64, 51, v67
	v_lshlrev_b32_e32 v167, 2, v1
	v_pack_b32_f16 v1, v97, v175
	v_pack_b32_f16 v11, v95, v183
	v_fma_f16 v98, 0x3aee, v198, v5
	v_and_b32_e32 v6, 0xffff, v9
	v_fmac_f16_e64 v5, 0xbaee, v198
	ds_store_b32 v169, v7 offset:136
	ds_store_2addr_b32 v167, v1, v11 offset1:17
	v_pack_b32_f16 v1, v4, v72
	v_and_b32_e32 v4, 0xffff, v8
	v_lshlrev_b32_e32 v174, 2, v6
	v_pack_b32_f16 v6, v177, v99
	v_pack_b32_f16 v7, v98, v186
	;; [unrolled: 1-line block ×3, first 2 shown]
	v_mad_u16 v8, v58, 51, v60
	v_sub_f16_e64 v85, v172, v85
	v_lshlrev_b32_e32 v172, 2, v4
	v_pack_b32_f16 v4, v187, v184
	v_pack_b32_f16 v9, v100, v188
	ds_store_b32 v167, v1 offset:136
	ds_store_2addr_b32 v174, v6, v7 offset1:17
	ds_store_b32 v174, v5 offset:136
	ds_store_2addr_b32 v172, v4, v9 offset1:17
	v_pack_b32_f16 v2, v2, v70
	v_mul_lo_u16 v5, 0xa1, v10
	v_and_b32_e32 v1, 0xffff, v8
	v_add_f16_e64 v191, v191, v213
	v_fmamk_f16 v12, v85, 0xbaee, v13
	ds_store_b32 v172, v2 offset:136
	v_lshrrev_b16 v2, 13, v5
	v_lshlrev_b32_e32 v176, 2, v1
	v_mad_u16 v1, v54, 51, v56
	v_fmac_f16_e32 v13, 0x3aee, v85
	v_pack_b32_f16 v4, v189, v191
	v_mul_lo_u16 v2, v2, 51
	v_pack_b32_f16 v6, v192, v193
	v_and_b32_e32 v1, 0xffff, v1
	v_pack_b32_f16 v3, v3, v14
	ds_store_2addr_b32 v176, v4, v6 offset1:17
	ds_store_b32 v176, v3 offset:136
	v_sub_nc_u16 v2, v50, v2
	v_lshlrev_b32_e32 v6, 2, v1
	v_pack_b32_f16 v5, v0, v13
	v_mad_co_u64_u32 v[0:1], null, v130, 40, s[0:1]
	v_pack_b32_f16 v3, v194, v197
	v_pack_b32_f16 v4, v96, v12
	v_and_b32_e32 v52, 0xff, v2
	scratch_store_b32 off, v6, off offset:72 ; 4-byte Folded Spill
	ds_store_b32 v6, v5 offset:136
	ds_store_2addr_b32 v6, v3, v4 offset1:17
	global_wb scope:SCOPE_SE
	s_wait_storecnt_dscnt 0x0
	s_barrier_signal -1
	s_barrier_wait -1
	global_inv scope:SCOPE_SE
	global_load_b128 v[12:15], v[0:1], off offset:136
	v_mad_co_u64_u32 v[41:42], null, v52, 40, s[0:1]
	s_clause 0x4
	global_load_b128 v[8:11], v[0:1], off offset:152
	global_load_b64 v[43:44], v[0:1], off offset:168
	global_load_b128 v[4:7], v[41:42], off offset:136
	global_load_b128 v[0:3], v[41:42], off offset:152
	global_load_b64 v[19:20], v[41:42], off offset:168
	ds_load_2addr_b32 v[47:48], v102 offset1:51
	ds_load_2addr_b32 v[45:46], v102 offset0:102 offset1:153
	ds_load_2addr_b32 v[67:68], v91 offset0:50 offset1:101
	;; [unrolled: 1-line block ×15, first 2 shown]
	ds_load_b32 v58, v102 offset:6528
	s_wait_dscnt 0x10
	v_lshrrev_b32_e32 v83, 16, v47
	s_wait_dscnt 0xf
	v_lshrrev_b32_e32 v60, 16, v46
	;; [unrolled: 2-line block ×4, first 2 shown]
	v_lshrrev_b32_e32 v72, 16, v94
	s_wait_dscnt 0xb
	v_lshrrev_b32_e32 v245, 16, v97
	v_lshrrev_b32_e32 v76, 16, v98
	;; [unrolled: 1-line block ×3, first 2 shown]
	s_wait_dscnt 0x9
	v_lshrrev_b32_e32 v85, 16, v200
	s_wait_dscnt 0x8
	v_lshrrev_b32_e32 v99, 16, v201
	;; [unrolled: 2-line block ×3, first 2 shown]
	v_lshrrev_b32_e32 v195, 16, v224
	v_lshrrev_b32_e32 v78, 16, v197
	;; [unrolled: 1-line block ×5, first 2 shown]
	s_wait_dscnt 0x0
	v_lshrrev_b32_e32 v251, 16, v58
	v_lshrrev_b32_e32 v240, 16, v233
	;; [unrolled: 1-line block ×17, first 2 shown]
	s_wait_loadcnt 0x5
	v_lshrrev_b32_e32 v196, 16, v12
	v_lshrrev_b32_e32 v194, 16, v13
	;; [unrolled: 1-line block ×3, first 2 shown]
	s_wait_loadcnt 0x4
	v_lshrrev_b32_e32 v191, 16, v8
	v_lshrrev_b32_e32 v189, 16, v10
	s_wait_loadcnt 0x2
	v_lshrrev_b32_e32 v184, 16, v5
	v_lshrrev_b32_e32 v182, 16, v7
	v_mul_f16_e64 v252, v60, v196
	v_mul_f16_e64 v253, v46, v196
	;; [unrolled: 1-line block ×7, first 2 shown]
	v_fmac_f16_e64 v253, v60, v12
	v_fma_f16 v46, v46, v12, -v252
	v_lshrrev_b32_e32 v192, 16, v15
	v_lshrrev_b32_e32 v188, 16, v11
	;; [unrolled: 1-line block ×3, first 2 shown]
	s_wait_loadcnt 0x0
	v_lshrrev_b32_e32 v175, 16, v20
	v_mul_f16_e64 v255, v72, v193
	v_mul_f16_e64 v103, v94, v193
	;; [unrolled: 1-line block ×6, first 2 shown]
	v_fma_f16 v153, v67, v13, -v80
	v_fmac_f16_e64 v254, v62, v13
	v_fmac_f16_e32 v81, v76, v8
	v_fma_f16 v76, v93, v5, -v144
	v_fma_f16 v67, v97, v7, -v146
	v_add_f16_e32 v93, v47, v46
	v_add_f16_e64 v97, v83, v253
	v_lshrrev_b32_e32 v187, 16, v43
	v_mul_f16_e64 v206, v74, v192
	v_mul_f16_e64 v141, v95, v192
	v_mul_f16_e64 v107, v85, v189
	v_mul_f16_e64 v111, v201, v188
	v_mul_f16_e64 v118, v203, v186
	v_mul_f16_e64 v152, v251, v175
	v_fmac_f16_e32 v103, v72, v14
	v_fmac_f16_e32 v109, v85, v10
	v_fma_f16 v85, v94, v14, -v255
	v_add_f16_e64 v93, v93, v153
	v_add_f16_e64 v97, v97, v254
	v_lshrrev_b32_e32 v190, 16, v9
	v_mul_f16_e64 v216, v99, v188
	v_mul_f16_e64 v113, v195, v187
	;; [unrolled: 1-line block ×3, first 2 shown]
	v_fma_f16 v95, v95, v15, -v206
	v_fma_f16 v118, v221, v44, -v118
	v_fmac_f16_e64 v141, v74, v15
	v_fmac_f16_e32 v111, v99, v11
	v_fma_f16 v99, v58, v20, -v152
	v_add_f16_e32 v58, v93, v85
	v_add_f16_e32 v93, v97, v103
	v_mul_f16_e64 v82, v197, v190
	v_fma_f16 v94, v98, v8, -v106
	v_fma_f16 v106, v224, v43, -v113
	v_add_f16_e32 v97, v46, v118
	v_sub_f16_e32 v113, v46, v118
	v_add_f16_e32 v46, v58, v95
	v_add_f16_e64 v58, v93, v141
	v_mul_f16_e64 v207, v78, v190
	v_mul_f16_e64 v211, v214, v194
	;; [unrolled: 1-line block ×3, first 2 shown]
	v_fmac_f16_e32 v82, v78, v9
	v_add_f16_e32 v58, v58, v81
	v_mul_f16_e64 v120, v221, v186
	v_mul_f16_e64 v208, v96, v192
	v_fma_f16 v220, v68, v13, -v211
	v_fma_f16 v211, v96, v15, -v126
	;; [unrolled: 1-line block ×3, first 2 shown]
	v_add_f16_e32 v46, v46, v94
	v_add_f16_e32 v58, v58, v82
	v_mul_f16_e64 v116, v224, v187
	v_mul_f16_e64 v131, v237, v190
	v_fmac_f16_e64 v120, v203, v44
	v_fma_f16 v98, v200, v10, -v107
	v_add_f16_e32 v46, v46, v96
	v_add_f16_e32 v58, v58, v109
	v_lshrrev_b32_e32 v181, 16, v0
	v_lshrrev_b32_e32 v177, 16, v19
	v_mul_f16_e64 v143, v240, v187
	v_fma_f16 v207, v198, v9, -v131
	v_fma_f16 v126, v201, v11, -v216
	v_fmac_f16_e64 v116, v195, v43
	v_add_f16_e64 v93, v253, v120
	v_mul_f16_e64 v131, 0xbb47, v113
	v_add_f16_e32 v46, v46, v98
	v_add_f16_e32 v58, v58, v111
	v_lshrrev_b32_e32 v185, 16, v4
	v_lshrrev_b32_e32 v183, 16, v6
	;; [unrolled: 1-line block ×5, first 2 shown]
	v_mul_f16_e64 v122, v209, v196
	v_mul_f16_e64 v204, v225, v196
	;; [unrolled: 1-line block ×8, first 2 shown]
	v_fma_f16 v221, v233, v43, -v143
	v_sub_f16_e64 v107, v253, v120
	v_fma_f16 v143, 0x36a6, v93, v131
	v_add_f16_e32 v46, v46, v126
	v_add_f16_e32 v58, v58, v116
	v_mul_f16_e64 v217, v68, v194
	v_mul_f16_e64 v136, v241, v186
	;; [unrolled: 1-line block ×8, first 2 shown]
	v_fma_f16 v216, v202, v11, -v133
	v_fma_f16 v206, v225, v12, -v122
	v_fmac_f16_e64 v204, v209, v12
	v_fmac_f16_e64 v212, v218, v14
	v_fma_f16 v218, v227, v14, -v124
	v_fma_f16 v209, v229, v8, -v128
	;; [unrolled: 1-line block ×4, first 2 shown]
	v_mul_f16_e32 v122, 0xb853, v107
	v_mul_f16_e32 v124, 0xb853, v113
	v_mul_f16_e64 v128, 0xbb47, v107
	v_mul_f16_e64 v133, 0xbbeb, v107
	v_add_f16_e32 v46, v46, v106
	v_add_f16_e32 v58, v58, v120
	v_add_f16_e64 v120, v83, v143
	v_mul_f16_e64 v143, 0xbbeb, v113
	v_mul_f16_e64 v144, 0xba0c, v107
	;; [unrolled: 1-line block ×3, first 2 shown]
	v_mul_f16_e32 v107, 0xb482, v107
	v_mul_f16_e32 v113, 0xb482, v113
	v_sub_f16_e64 v151, v254, v116
	v_add_f16_e64 v152, v153, v106
	v_sub_f16_e64 v106, v153, v106
	v_mul_f16_e64 v205, v222, v186
	v_fma_f16 v222, v222, v44, -v136
	v_fma_f16 v80, v226, v4, -v137
	v_fmac_f16_e64 v217, v214, v13
	v_fma_f16 v214, v231, v10, -v138
	v_fma_f16 v72, v228, v6, -v145
	;; [unrolled: 1-line block ×6, first 2 shown]
	v_fma_f16 v137, 0x3abb, v93, v124
	v_fmac_f16_e32 v122, 0x3abb, v97
	v_fma_f16 v124, v93, 0x3abb, -v124
	v_fma_f16 v138, v97, 0x36a6, -v128
	v_fmac_f16_e64 v128, 0x36a6, v97
	v_add_f16_e32 v46, v46, v118
	v_fma_f16 v118, v93, 0x36a6, -v131
	v_fma_f16 v131, v97, 0xb08e, -v133
	v_fma_f16 v145, 0xb08e, v93, v143
	v_fmac_f16_e64 v133, 0xb08e, v97
	v_fma_f16 v143, v93, 0xb08e, -v143
	v_fma_f16 v146, v97, 0xb93d, -v144
	v_fma_f16 v148, 0xb93d, v93, v147
	v_fmac_f16_e64 v144, 0xb93d, v97
	v_fma_f16 v147, v93, 0xb93d, -v147
	v_fma_f16 v149, v97, 0xbbad, -v107
	v_fma_f16 v150, 0xbbad, v93, v113
	v_mul_f16_e64 v153, 0xbb47, v151
	v_fmac_f16_e32 v107, 0xbbad, v97
	v_fma_f16 v93, v93, 0xbbad, -v113
	v_add_f16_e64 v97, v254, v116
	v_mul_f16_e32 v113, 0xbb47, v106
	v_add_f16_e64 v136, v47, v136
	v_add_f16_e64 v137, v83, v137
	v_add_f16_e32 v122, v47, v122
	v_add_f16_e32 v124, v83, v124
	v_add_f16_e64 v138, v47, v138
	v_add_f16_e64 v128, v47, v128
	v_add_f16_e32 v118, v83, v118
	v_add_f16_e64 v131, v47, v131
	v_add_f16_e64 v145, v83, v145
	;; [unrolled: 1-line block ×10, first 2 shown]
	v_fma_f16 v116, v152, 0x36a6, -v153
	v_add_f16_e32 v47, v47, v107
	v_add_f16_e32 v83, v83, v93
	v_mul_f16_e64 v93, 0xba0c, v151
	v_fmamk_f16 v107, v97, 0x36a6, v113
	v_add_f16_e64 v116, v116, v136
	v_fmac_f16_e64 v153, 0x36a6, v152
	v_fma_f16 v113, v97, 0x36a6, -v113
	v_fma_f16 v136, v152, 0xb93d, -v93
	v_add_f16_e64 v107, v107, v137
	v_mul_f16_e64 v137, 0xba0c, v106
	v_add_f16_e64 v122, v153, v122
	v_add_f16_e32 v113, v113, v124
	v_add_f16_e64 v124, v136, v138
	v_mul_f16_e64 v136, 0x3482, v151
	v_fma_f16 v138, 0xb93d, v97, v137
	v_fmac_f16_e64 v93, 0xb93d, v152
	v_mul_f16_e64 v153, 0x3482, v106
	v_fma_f16 v137, v97, 0xb93d, -v137
	v_fma_f16 v195, v152, 0xbbad, -v136
	v_add_f16_e64 v120, v138, v120
	v_add_f16_e64 v93, v93, v128
	v_fma_f16 v128, 0xbbad, v97, v153
	v_fmac_f16_e64 v136, 0xbbad, v152
	v_fma_f16 v138, v97, 0xbbad, -v153
	v_add_f16_e64 v118, v137, v118
	v_mul_f16_e64 v137, 0x3beb, v151
	v_add_f16_e64 v128, v128, v145
	v_mul_f16_e64 v145, 0x3beb, v106
	v_add_f16_e64 v133, v136, v133
	v_add_f16_e64 v136, v138, v143
	v_mul_f16_e64 v138, 0x3853, v151
	v_fma_f16 v153, v152, 0xb08e, -v137
	v_fma_f16 v143, 0xb08e, v97, v145
	v_fmac_f16_e64 v137, 0xb08e, v152
	v_fma_f16 v145, v97, 0xb08e, -v145
	v_fma_f16 v151, v152, 0x3abb, -v138
	v_mul_f16_e32 v106, 0x3853, v106
	v_add_f16_e64 v143, v143, v148
	v_add_f16_e64 v137, v137, v144
	;; [unrolled: 1-line block ×4, first 2 shown]
	v_sub_f16_e64 v147, v103, v111
	v_sub_f16_e64 v149, v85, v126
	v_fma_f16 v148, 0x3abb, v97, v106
	v_fmac_f16_e64 v138, 0x3abb, v152
	v_add_f16_e32 v85, v85, v126
	v_mul_f16_e64 v126, 0xbbeb, v147
	v_fma_f16 v97, v97, 0x3abb, -v106
	v_add_f16_e32 v103, v103, v111
	v_mul_f16_e64 v106, 0xbbeb, v149
	v_add_f16_e64 v111, v148, v150
	v_fma_f16 v148, v85, 0xb08e, -v126
	v_add_f16_e64 v47, v138, v47
	v_add_f16_e32 v83, v97, v83
	v_fmamk_f16 v97, v103, 0xb08e, v106
	v_mul_f16_e64 v138, 0x3482, v147
	v_fma_f16 v106, v103, 0xb08e, -v106
	v_add_f16_e64 v116, v148, v116
	v_fmac_f16_e32 v126, 0xb08e, v85
	v_add_f16_e32 v97, v97, v107
	v_fma_f16 v107, v85, 0xbbad, -v138
	v_mul_f16_e64 v148, 0x3482, v149
	v_add_f16_e32 v106, v106, v113
	v_mul_f16_e64 v113, 0x3b47, v147
	v_add_f16_e64 v131, v195, v131
	v_add_f16_e32 v122, v126, v122
	v_add_f16_e32 v107, v107, v124
	v_fma_f16 v124, 0xbbad, v103, v148
	v_fma_f16 v126, v103, 0xbbad, -v148
	v_fma_f16 v148, v85, 0x36a6, -v113
	v_mul_f16_e64 v150, 0x3b47, v149
	v_fmac_f16_e64 v138, 0xbbad, v85
	v_add_f16_e32 v120, v124, v120
	v_add_f16_e32 v118, v126, v118
	v_add_f16_e64 v124, v148, v131
	v_fma_f16 v126, 0x36a6, v103, v150
	v_mul_f16_e64 v131, 0xb853, v147
	v_add_f16_e64 v146, v153, v146
	v_add_f16_e64 v93, v138, v93
	v_fmac_f16_e32 v113, 0x36a6, v85
	v_fma_f16 v138, v103, 0x36a6, -v150
	v_mul_f16_e64 v148, 0xb853, v149
	v_add_f16_e64 v126, v126, v128
	v_fma_f16 v128, v85, 0x3abb, -v131
	v_add_f16_e64 v113, v113, v133
	v_add_f16_e64 v133, v138, v136
	v_fma_f16 v136, 0x3abb, v103, v148
	v_mul_f16_e64 v138, 0xba0c, v147
	v_add_f16_e64 v128, v128, v146
	v_fmac_f16_e64 v131, 0x3abb, v85
	v_fma_f16 v146, v103, 0x3abb, -v148
	v_add_f16_e64 v136, v136, v143
	v_fma_f16 v143, v85, 0xb93d, -v138
	v_mul_f16_e64 v147, 0xba0c, v149
	v_add_f16_e64 v131, v131, v137
	v_add_f16_e64 v137, v146, v144
	;; [unrolled: 1-line block ×3, first 2 shown]
	v_sub_f16_e32 v95, v95, v98
	v_sub_f16_e64 v144, v141, v109
	v_add_f16_e64 v143, v143, v145
	v_fma_f16 v145, 0xb93d, v103, v147
	v_fmac_f16_e64 v138, 0xb93d, v85
	v_fma_f16 v85, v103, 0xb93d, -v147
	v_add_f16_e64 v103, v141, v109
	v_mul_f16_e32 v109, 0xba0c, v95
	v_mul_f16_e64 v98, 0xba0c, v144
	v_add_f16_e64 v47, v138, v47
	v_add_f16_e32 v83, v85, v83
	v_mul_f16_e64 v138, 0x3beb, v144
	v_fmamk_f16 v85, v103, 0xb93d, v109
	v_fma_f16 v141, v146, 0xb93d, -v98
	v_fmac_f16_e64 v98, 0xb93d, v146
	v_fma_f16 v109, v103, 0xb93d, -v109
	v_add_f16_e64 v111, v145, v111
	v_add_f16_e32 v85, v85, v97
	v_mul_f16_e32 v97, 0x3beb, v95
	v_add_f16_e64 v116, v141, v116
	v_fma_f16 v141, v146, 0xb08e, -v138
	v_add_f16_e32 v98, v98, v122
	v_add_f16_e32 v106, v109, v106
	v_mul_f16_e64 v109, 0xb853, v144
	v_fmamk_f16 v122, v103, 0xb08e, v97
	v_add_f16_e64 v107, v141, v107
	v_fmac_f16_e64 v138, 0xb08e, v146
	v_fma_f16 v97, v103, 0xb08e, -v97
	v_fma_f16 v141, v146, 0x3abb, -v109
	v_add_f16_e32 v120, v122, v120
	v_mul_f16_e32 v122, 0xb853, v95
	v_add_f16_e64 v93, v138, v93
	v_add_f16_e32 v97, v97, v118
	v_add_f16_e64 v118, v141, v124
	v_mul_f16_e64 v124, 0xb482, v144
	v_fma_f16 v138, 0x3abb, v103, v122
	v_fmac_f16_e64 v109, 0x3abb, v146
	v_mul_f16_e64 v141, 0xb482, v95
	v_fma_f16 v122, v103, 0x3abb, -v122
	v_fma_f16 v145, v146, 0xbbad, -v124
	v_fmac_f16_e64 v124, 0xbbad, v146
	v_add_f16_e32 v109, v109, v113
	v_fma_f16 v113, 0xbbad, v103, v141
	v_add_f16_e64 v122, v122, v133
	v_mul_f16_e64 v133, 0x3b47, v144
	v_mul_f16_e32 v95, 0x3b47, v95
	v_add_f16_e64 v126, v138, v126
	v_add_f16_e64 v113, v113, v136
	v_fma_f16 v136, v103, 0xbbad, -v141
	v_fma_f16 v138, v146, 0x36a6, -v133
	v_add_f16_e64 v124, v124, v131
	v_sub_f16_e64 v131, v81, v82
	v_fma_f16 v141, 0x36a6, v103, v95
	v_add_f16_e64 v136, v136, v137
	v_add_f16_e64 v137, v138, v143
	v_add_f16_e64 v138, v94, v96
	v_mul_f16_e64 v143, 0xb482, v131
	v_add_f16_e64 v111, v141, v111
	v_sub_f16_e64 v141, v94, v96
	v_fmac_f16_e64 v133, 0x36a6, v146
	v_fma_f16 v94, v103, 0x36a6, -v95
	v_fma_f16 v95, v138, 0xbbad, -v143
	v_add_f16_e32 v103, v81, v82
	v_mul_f16_e64 v82, 0xb482, v141
	v_add_f16_e64 v133, v133, v47
	v_add_f16_e64 v144, v94, v83
	v_add_f16_e32 v81, v95, v116
	v_mul_f16_e64 v94, 0x3853, v131
	v_fmamk_f16 v47, v103, 0xbbad, v82
	v_fmac_f16_e64 v143, 0xbbad, v138
	v_mul_f16_e64 v95, 0x3853, v141
	v_fma_f16 v82, v103, 0xbbad, -v82
	v_fma_f16 v96, v138, 0x3abb, -v94
	v_add_f16_e32 v83, v47, v85
	v_add_f16_e64 v47, v143, v98
	v_fmamk_f16 v98, v103, 0x3abb, v95
	v_add_f16_e32 v82, v82, v106
	v_mul_f16_e64 v106, 0xba0c, v131
	v_add_f16_e32 v85, v96, v107
	v_mul_f16_e64 v107, 0xba0c, v141
	v_add_f16_e32 v96, v98, v120
	v_fmac_f16_e64 v94, 0x3abb, v138
	v_fma_f16 v95, v103, 0x3abb, -v95
	v_fma_f16 v98, v138, 0xb93d, -v106
	v_fmac_f16_e64 v106, 0xb93d, v138
	v_fmamk_f16 v116, v103, 0xb93d, v107
	v_add_f16_e32 v93, v94, v93
	v_add_f16_e32 v94, v95, v97
	v_mul_f16_e64 v100, v229, v191
	v_add_f16_e32 v95, v106, v109
	v_fma_f16 v106, v103, 0xb93d, -v107
	v_add_f16_e64 v107, v48, v206
	v_add_f16_e64 v109, v215, v204
	v_fmac_f16_e64 v208, v235, v15
	v_add_f16_e32 v97, v98, v118
	v_add_f16_e64 v195, v106, v122
	v_add_f16_e64 v106, v107, v220
	;; [unrolled: 1-line block ×3, first 2 shown]
	v_add_f16_e32 v98, v116, v126
	v_mul_f16_e64 v116, 0x3b47, v131
	v_mul_f16_e64 v118, 0x3b47, v141
	v_add_f16_e64 v106, v106, v218
	v_add_f16_e64 v107, v107, v212
	v_mul_f16_e64 v101, v198, v190
	v_fmac_f16_e64 v100, v236, v8
	v_add_f16_e64 v128, v145, v128
	v_fma_f16 v109, v138, 0x36a6, -v116
	v_fmamk_f16 v120, v103, 0x36a6, v118
	v_add_f16_e64 v106, v106, v211
	v_add_f16_e64 v107, v107, v208
	v_mul_f16_e64 v210, v231, v189
	v_mul_f16_e64 v56, v199, v180
	v_fmac_f16_e64 v101, v237, v9
	v_fmac_f16_e64 v116, 0x36a6, v138
	v_add_f16_e64 v198, v109, v128
	v_add_f16_e64 v199, v120, v113
	v_fma_f16 v109, v103, 0x36a6, -v118
	v_mul_f16_e64 v113, 0xbbeb, v131
	v_add_f16_e64 v106, v106, v209
	v_add_f16_e32 v107, v107, v100
	v_mul_f16_e64 v213, v202, v188
	v_fmac_f16_e64 v210, v238, v10
	v_fmac_f16_e64 v205, v241, v44
	v_add_f16_e64 v197, v116, v124
	v_mul_f16_e64 v116, 0xbbeb, v141
	v_add_f16_e64 v200, v109, v136
	v_fma_f16 v109, v138, 0xb08e, -v113
	v_add_f16_e64 v106, v106, v207
	v_add_f16_e32 v107, v107, v101
	v_mul_f16_e64 v219, v233, v187
	v_fmac_f16_e64 v213, v239, v11
	v_fmamk_f16 v118, v103, 0xb08e, v116
	v_fmac_f16_e64 v113, 0xb08e, v138
	v_add_f16_e64 v201, v109, v137
	v_add_f16_e64 v106, v106, v214
	;; [unrolled: 1-line block ×3, first 2 shown]
	v_sub_f16_e64 v109, v204, v205
	v_fmac_f16_e64 v219, v240, v43
	v_add_f16_e64 v202, v118, v111
	v_add_f16_e64 v203, v113, v133
	v_fma_f16 v103, v103, 0xb08e, -v116
	v_add_f16_e64 v106, v106, v216
	v_add_f16_e64 v107, v107, v213
	;; [unrolled: 1-line block ×3, first 2 shown]
	v_mul_f16_e32 v113, 0xb853, v109
	v_sub_f16_e64 v116, v206, v222
	v_add_f16_e64 v106, v106, v221
	v_add_f16_e64 v107, v107, v219
	;; [unrolled: 1-line block ×3, first 2 shown]
	v_fma_f16 v120, v111, 0x3abb, -v113
	v_mul_f16_e32 v122, 0xb853, v116
	v_add_f16_e64 v206, v103, v144
	v_add_f16_e64 v204, v106, v222
	;; [unrolled: 1-line block ×3, first 2 shown]
	v_add_f16_e32 v103, v48, v120
	v_fmamk_f16 v106, v118, 0x3abb, v122
	v_mul_f16_e32 v107, 0xbb47, v109
	v_fma_f16 v120, v118, 0x3abb, -v122
	v_mul_f16_e32 v122, 0xbb47, v116
	v_mul_f16_e64 v128, 0xbbeb, v109
	v_mul_f16_e64 v133, 0xbbeb, v116
	;; [unrolled: 1-line block ×4, first 2 shown]
	v_mul_f16_e32 v109, 0xb482, v109
	v_mul_f16_e32 v116, 0xb482, v116
	v_sub_f16_e64 v146, v217, v219
	v_sub_f16_e64 v148, v220, v221
	v_fmac_f16_e32 v113, 0x3abb, v111
	v_fma_f16 v124, v111, 0x36a6, -v107
	v_fmamk_f16 v126, v118, 0x36a6, v122
	v_fmac_f16_e32 v107, 0x36a6, v111
	v_fma_f16 v122, v118, 0x36a6, -v122
	v_fma_f16 v131, v111, 0xb08e, -v128
	v_fma_f16 v137, 0xb08e, v118, v133
	v_fmac_f16_e64 v128, 0xb08e, v111
	v_fma_f16 v133, v118, 0xb08e, -v133
	v_fma_f16 v138, v111, 0xb93d, -v136
	v_fma_f16 v143, 0xb93d, v118, v141
	v_fmac_f16_e64 v136, 0xb93d, v111
	v_fma_f16 v141, v118, 0xb93d, -v141
	v_fma_f16 v144, v111, 0xbbad, -v109
	v_fma_f16 v145, 0xbbad, v118, v116
	v_add_f16_e64 v147, v220, v221
	v_mul_f16_e64 v149, 0xbb47, v146
	v_fmac_f16_e32 v109, 0xbbad, v111
	v_fma_f16 v111, v118, 0xbbad, -v116
	v_add_f16_e64 v116, v217, v219
	v_mul_f16_e64 v118, 0xbb47, v148
	v_add_f16_e64 v106, v215, v106
	v_add_f16_e32 v113, v48, v113
	v_add_f16_e32 v124, v48, v124
	;; [unrolled: 1-line block ×3, first 2 shown]
	v_add_f16_e64 v131, v48, v131
	v_add_f16_e64 v128, v48, v128
	v_add_f16_e64 v138, v48, v138
	v_add_f16_e64 v136, v48, v136
	v_add_f16_e64 v144, v48, v144
	v_fma_f16 v150, v147, 0x36a6, -v149
	v_add_f16_e32 v48, v48, v109
	v_add_f16_e64 v109, v215, v111
	v_mul_f16_e64 v111, 0xba0c, v146
	v_fma_f16 v151, 0x36a6, v116, v118
	v_add_f16_e64 v120, v215, v120
	v_add_f16_e64 v103, v150, v103
	v_fmac_f16_e64 v149, 0x36a6, v147
	v_fma_f16 v118, v116, 0x36a6, -v118
	v_fma_f16 v150, v147, 0xb93d, -v111
	v_add_f16_e64 v106, v151, v106
	v_mul_f16_e64 v151, 0xba0c, v148
	v_add_f16_e64 v122, v215, v122
	v_add_f16_e64 v113, v149, v113
	v_add_f16_e32 v118, v118, v120
	v_add_f16_e64 v120, v150, v124
	v_mul_f16_e64 v124, 0x3482, v146
	v_fma_f16 v149, 0xb93d, v116, v151
	v_fmac_f16_e64 v111, 0xb93d, v147
	v_fma_f16 v150, v116, 0xb93d, -v151
	v_mul_f16_e64 v151, 0x3482, v148
	v_add_f16_e64 v137, v215, v137
	v_add_f16_e64 v133, v215, v133
	v_fma_f16 v152, v147, 0xbbad, -v124
	v_add_f16_e32 v107, v111, v107
	v_add_f16_e64 v111, v150, v122
	v_fma_f16 v122, 0xbbad, v116, v151
	v_fmac_f16_e64 v124, 0xbbad, v147
	v_fma_f16 v150, v116, 0xbbad, -v151
	v_add_f16_e64 v126, v215, v126
	v_add_f16_e64 v143, v215, v143
	;; [unrolled: 1-line block ×3, first 2 shown]
	v_mul_f16_e64 v137, 0x3beb, v148
	v_add_f16_e64 v124, v124, v128
	v_add_f16_e64 v128, v150, v133
	v_mul_f16_e64 v133, 0x3853, v146
	v_add_f16_e64 v141, v215, v141
	v_add_f16_e64 v126, v149, v126
	v_mul_f16_e64 v149, 0x3beb, v146
	v_fma_f16 v146, 0xb08e, v116, v137
	v_fma_f16 v137, v116, 0xb08e, -v137
	v_fma_f16 v150, v147, 0x3abb, -v133
	v_add_f16_e64 v145, v215, v145
	v_fma_f16 v151, v147, 0xb08e, -v149
	v_fmac_f16_e64 v149, 0xb08e, v147
	v_add_f16_e64 v143, v146, v143
	v_mul_f16_e64 v146, 0x3853, v148
	v_add_f16_e64 v137, v137, v141
	v_add_f16_e64 v141, v150, v144
	v_sub_f16_e64 v144, v212, v213
	v_add_f16_e64 v136, v149, v136
	v_fma_f16 v148, 0x3abb, v116, v146
	v_fmac_f16_e64 v133, 0x3abb, v147
	v_sub_f16_e64 v147, v218, v216
	v_add_f16_e64 v149, v218, v216
	v_mul_f16_e64 v150, 0xbbeb, v144
	v_add_f16_e64 v138, v151, v138
	v_fma_f16 v116, v116, 0x3abb, -v146
	v_add_f16_e64 v146, v212, v213
	v_mul_f16_e64 v151, 0xbbeb, v147
	v_add_f16_e64 v145, v148, v145
	v_fma_f16 v148, v149, 0xb08e, -v150
	v_add_f16_e64 v48, v133, v48
	v_add_f16_e32 v109, v116, v109
	v_fma_f16 v116, 0xb08e, v146, v151
	v_mul_f16_e64 v133, 0x3482, v144
	v_add_f16_e64 v103, v148, v103
	v_fma_f16 v148, v146, 0xb08e, -v151
	v_fmac_f16_e64 v150, 0xb08e, v149
	v_add_f16_e32 v106, v116, v106
	v_fma_f16 v116, v149, 0xbbad, -v133
	v_mul_f16_e64 v151, 0x3482, v147
	v_add_f16_e64 v118, v148, v118
	v_mul_f16_e64 v148, 0x3b47, v144
	v_add_f16_e64 v131, v152, v131
	v_add_f16_e64 v113, v150, v113
	v_add_f16_e32 v116, v116, v120
	v_fma_f16 v120, 0xbbad, v146, v151
	v_fmac_f16_e64 v133, 0xbbad, v149
	v_fma_f16 v150, v146, 0xbbad, -v151
	v_fma_f16 v151, v149, 0x36a6, -v148
	v_mul_f16_e64 v152, 0x3b47, v147
	v_add_f16_e32 v120, v120, v126
	v_add_f16_e64 v107, v133, v107
	v_mul_f16_e64 v133, 0xb853, v144
	v_add_f16_e64 v126, v151, v131
	v_fma_f16 v131, 0x36a6, v146, v152
	v_fmac_f16_e64 v148, 0x36a6, v149
	v_mul_f16_e64 v151, 0xb853, v147
	v_add_f16_e64 v111, v150, v111
	v_fma_f16 v150, v146, 0x36a6, -v152
	v_add_f16_e64 v122, v131, v122
	v_fma_f16 v131, v149, 0x3abb, -v133
	v_add_f16_e64 v124, v148, v124
	v_fma_f16 v148, 0x3abb, v146, v151
	v_mul_f16_e64 v144, 0xba0c, v144
	v_add_f16_e64 v128, v150, v128
	v_add_f16_e64 v131, v131, v138
	v_fmac_f16_e64 v133, 0x3abb, v149
	v_fma_f16 v138, v146, 0x3abb, -v151
	v_add_f16_e64 v143, v148, v143
	v_fma_f16 v148, v149, 0xb93d, -v144
	v_mul_f16_e64 v147, 0xba0c, v147
	v_sub_f16_e64 v150, v211, v214
	v_add_f16_e64 v133, v133, v136
	v_add_f16_e64 v136, v138, v137
	v_sub_f16_e64 v137, v208, v210
	v_add_f16_e64 v138, v148, v141
	v_fma_f16 v141, 0xb93d, v146, v147
	v_fmac_f16_e64 v144, 0xb93d, v149
	v_fma_f16 v146, v146, 0xb93d, -v147
	v_add_f16_e64 v147, v208, v210
	v_mul_f16_e64 v149, 0xba0c, v150
	v_add_f16_e64 v148, v211, v214
	v_mul_f16_e64 v151, 0xba0c, v137
	v_add_f16_e64 v48, v144, v48
	v_add_f16_e64 v141, v141, v145
	v_fma_f16 v144, 0xb93d, v147, v149
	v_add_f16_e64 v109, v146, v109
	v_fma_f16 v152, v148, 0xb93d, -v151
	v_mul_f16_e64 v145, 0x3beb, v137
	v_fmac_f16_e64 v151, 0xb93d, v148
	v_fma_f16 v146, v147, 0xb93d, -v149
	v_add_f16_e64 v106, v144, v106
	v_mul_f16_e64 v144, 0x3beb, v150
	v_fma_f16 v149, v148, 0xb08e, -v145
	v_add_f16_e64 v113, v151, v113
	v_add_f16_e64 v118, v146, v118
	v_mul_f16_e64 v146, 0xb853, v137
	v_fma_f16 v151, 0xb08e, v147, v144
	v_add_f16_e64 v116, v149, v116
	v_fmac_f16_e64 v145, 0xb08e, v148
	v_fma_f16 v144, v147, 0xb08e, -v144
	v_fma_f16 v149, v148, 0x3abb, -v146
	v_add_f16_e64 v120, v151, v120
	v_mul_f16_e64 v151, 0xb853, v150
	v_add_f16_e64 v107, v145, v107
	v_add_f16_e64 v111, v144, v111
	;; [unrolled: 1-line block ×3, first 2 shown]
	v_mul_f16_e64 v149, 0xb482, v150
	v_fma_f16 v145, 0x3abb, v147, v151
	v_mul_f16_e64 v144, 0xb482, v137
	v_add_f16_e64 v103, v152, v103
	v_fmac_f16_e64 v146, 0x3abb, v148
	v_mul_f16_e64 v137, 0x3b47, v137
	v_add_f16_e64 v122, v145, v122
	v_fma_f16 v145, 0xbbad, v147, v149
	v_fma_f16 v152, v148, 0xbbad, -v144
	v_fmac_f16_e64 v144, 0xbbad, v148
	v_add_f16_e64 v124, v146, v124
	v_fma_f16 v146, v147, 0xbbad, -v149
	v_add_f16_e64 v143, v145, v143
	v_mul_f16_e64 v145, 0x3b47, v150
	v_fma_f16 v149, v148, 0x36a6, -v137
	v_add_f16_e64 v133, v144, v133
	v_sub_f16_e64 v144, v100, v101
	v_add_f16_e64 v136, v146, v136
	v_fma_f16 v150, 0x36a6, v147, v145
	v_add_f16_e64 v138, v149, v138
	v_add_f16_e64 v146, v209, v207
	v_mul_f16_e64 v149, 0xb482, v144
	v_fma_f16 v151, v147, 0x3abb, -v151
	v_add_f16_e64 v141, v150, v141
	v_sub_f16_e64 v150, v209, v207
	v_fmac_f16_e64 v137, 0x36a6, v148
	v_fma_f16 v145, v147, 0x36a6, -v145
	v_fma_f16 v147, v146, 0xbbad, -v149
	v_add_f16_e64 v148, v100, v101
	v_mul_f16_e64 v100, 0xb482, v150
	v_add_f16_e64 v137, v137, v48
	v_add_f16_e64 v109, v145, v109
	;; [unrolled: 1-line block ×3, first 2 shown]
	v_mul_f16_e64 v103, 0x3853, v144
	v_fma_f16 v48, 0xbbad, v148, v100
	v_mul_f16_e64 v145, 0x3853, v150
	v_mul_f16_e64 v77, v226, v185
	v_add_f16_e64 v128, v151, v128
	v_fma_f16 v147, v146, 0x3abb, -v103
	v_add_f16_e64 v207, v48, v106
	v_fma_f16 v106, 0x3abb, v148, v145
	v_fmac_f16_e64 v103, 0x3abb, v146
	v_fmac_f16_e64 v77, v242, v4
	v_add_f16_e64 v208, v147, v116
	v_mul_f16_e64 v116, 0xba0c, v150
	v_add_f16_e64 v212, v106, v120
	v_fma_f16 v106, v148, 0x3abb, -v145
	v_fmac_f16_e64 v149, 0xbbad, v146
	v_add_f16_e64 v209, v103, v107
	v_add_f16_e32 v107, v45, v80
	v_mul_f16_e64 v70, v228, v183
	v_add_f16_e64 v210, v106, v111
	v_fma_f16 v106, v148, 0xb93d, -v116
	v_fmac_f16_e64 v73, v243, v5
	v_fma_f16 v100, v148, 0xbbad, -v100
	v_add_f16_e64 v48, v149, v113
	v_mul_f16_e64 v113, 0xba0c, v144
	v_mul_f16_e64 v103, 0x3b47, v144
	v_add_f16_e32 v111, v69, v77
	v_add_f16_e64 v215, v106, v128
	v_add_f16_e32 v106, v107, v76
	v_fmac_f16_e64 v70, v244, v6
	v_add_f16_e32 v100, v100, v118
	v_fma_f16 v118, v146, 0xb93d, -v113
	v_fma_f16 v120, 0xb93d, v148, v116
	v_fmac_f16_e64 v113, 0xb93d, v146
	v_fma_f16 v116, v146, 0x36a6, -v103
	v_add_f16_e32 v107, v111, v73
	v_fmac_f16_e64 v103, 0x36a6, v146
	v_add_f16_e32 v106, v106, v72
	v_mul_f16_e64 v54, v230, v181
	v_fmac_f16_e64 v64, v245, v7
	v_add_f16_e64 v211, v113, v124
	v_mul_f16_e64 v113, 0x3b47, v150
	v_add_f16_e32 v107, v107, v70
	v_add_f16_e64 v217, v103, v133
	v_add_f16_e32 v103, v106, v67
	v_fmac_f16_e64 v54, v246, v0
	v_add_f16_e64 v131, v152, v131
	v_fma_f16 v111, 0x36a6, v148, v113
	v_add_f16_e32 v106, v107, v64
	v_add_f16_e32 v103, v103, v60
	v_mul_f16_e64 v66, v232, v179
	v_fmac_f16_e64 v56, v247, v1
	v_add_f16_e64 v216, v116, v131
	v_add_f16_e64 v218, v111, v143
	v_mul_f16_e64 v111, 0xbbeb, v144
	v_fma_f16 v107, v148, 0x36a6, -v113
	v_mul_f16_e64 v116, 0xbbeb, v150
	v_add_f16_e32 v106, v106, v54
	v_add_f16_e32 v103, v103, v62
	v_mul_f16_e64 v71, v223, v178
	v_fmac_f16_e64 v66, v248, v2
	v_fmac_f16_e64 v79, v251, v20
	v_fma_f16 v113, v146, 0xb08e, -v111
	v_add_f16_e64 v219, v107, v136
	v_fma_f16 v107, 0xb08e, v148, v116
	v_add_f16_e32 v106, v106, v56
	v_add_f16_e32 v103, v103, v68
	v_mul_f16_e64 v75, v234, v177
	v_fmac_f16_e64 v71, v249, v3
	v_add_f16_e64 v220, v113, v138
	v_fmac_f16_e64 v111, 0xb08e, v146
	v_fma_f16 v113, v148, 0xb08e, -v116
	v_add_f16_e64 v221, v107, v141
	v_add_f16_e32 v106, v106, v66
	v_sub_f16_e32 v107, v77, v79
	v_add_f16_e32 v103, v103, v74
	v_fmac_f16_e64 v75, v250, v19
	v_add_f16_e64 v222, v111, v137
	v_add_f16_e64 v223, v113, v109
	v_add_f16_e32 v106, v106, v71
	v_add_f16_e32 v109, v80, v99
	v_mul_f16_e32 v111, 0xb853, v107
	v_add_f16_e32 v103, v103, v78
	v_add_f16_e64 v213, v118, v126
	v_add_f16_e64 v214, v120, v122
	v_sub_f16_e32 v80, v80, v99
	v_add_f16_e32 v106, v106, v75
	v_add_f16_e32 v113, v77, v79
	v_fma_f16 v118, v109, 0x3abb, -v111
	v_add_f16_e32 v77, v103, v99
	v_mul_f16_e32 v99, 0xbb47, v107
	v_mul_f16_e32 v122, 0xbbeb, v107
	v_mul_f16_e64 v133, 0xba0c, v107
	v_mul_f16_e32 v107, 0xb482, v107
	v_mul_f16_e32 v116, 0xb853, v80
	v_add_f16_e32 v79, v106, v79
	v_add_f16_e32 v106, v45, v118
	v_fmac_f16_e32 v111, 0x3abb, v109
	v_fma_f16 v118, v109, 0x36a6, -v99
	v_mul_f16_e32 v120, 0xbb47, v80
	v_fmac_f16_e32 v99, 0x36a6, v109
	v_mul_f16_e32 v126, 0xbbeb, v80
	v_fma_f16 v128, v109, 0xb08e, -v122
	v_fmac_f16_e32 v122, 0xb08e, v109
	v_mul_f16_e64 v136, 0xba0c, v80
	v_fma_f16 v137, v109, 0xb93d, -v133
	v_fmac_f16_e64 v133, 0xb93d, v109
	v_fma_f16 v141, v109, 0xbbad, -v107
	v_mul_f16_e32 v80, 0xb482, v80
	v_sub_f16_e64 v143, v73, v75
	v_fmac_f16_e32 v107, 0xbbad, v109
	v_sub_f16_e32 v109, v76, v78
	v_fmamk_f16 v103, v113, 0x3abb, v116
	v_fma_f16 v116, v113, 0x3abb, -v116
	v_fmamk_f16 v124, v113, 0x36a6, v120
	v_fma_f16 v120, v113, 0x36a6, -v120
	v_fma_f16 v131, 0xb08e, v113, v126
	v_fma_f16 v126, v113, 0xb08e, -v126
	v_fma_f16 v138, 0xb93d, v113, v136
	;; [unrolled: 2-line block ×3, first 2 shown]
	v_add_f16_e32 v76, v76, v78
	v_mul_f16_e64 v78, 0xbb47, v143
	v_fma_f16 v80, v113, 0xbbad, -v80
	v_add_f16_e32 v73, v73, v75
	v_mul_f16_e32 v75, 0xbb47, v109
	v_add_f16_e32 v103, v69, v103
	v_add_f16_e32 v111, v45, v111
	;; [unrolled: 1-line block ×7, first 2 shown]
	v_add_f16_e64 v128, v45, v128
	v_add_f16_e64 v131, v69, v131
	v_add_f16_e32 v122, v45, v122
	v_add_f16_e32 v126, v69, v126
	v_add_f16_e64 v137, v45, v137
	v_add_f16_e64 v138, v69, v138
	;; [unrolled: 1-line block ×6, first 2 shown]
	v_fma_f16 v144, v76, 0x36a6, -v78
	v_add_f16_e32 v45, v45, v107
	v_add_f16_e32 v69, v69, v80
	v_fmamk_f16 v80, v73, 0x36a6, v75
	v_mul_f16_e64 v107, 0xba0c, v143
	v_add_f16_e64 v106, v144, v106
	v_fmac_f16_e32 v78, 0x36a6, v76
	v_fma_f16 v75, v73, 0x36a6, -v75
	v_add_f16_e32 v80, v80, v103
	v_fma_f16 v103, v76, 0xb93d, -v107
	v_mul_f16_e64 v144, 0xba0c, v109
	v_add_f16_e32 v78, v78, v111
	v_add_f16_e32 v75, v75, v116
	v_mul_f16_e64 v111, 0x3482, v143
	v_add_f16_e32 v103, v103, v118
	v_fma_f16 v116, 0xb93d, v73, v144
	v_fmac_f16_e32 v107, 0xb93d, v76
	v_fma_f16 v118, v73, 0xb93d, -v144
	v_mul_f16_e64 v145, 0x3482, v109
	v_fma_f16 v144, v76, 0xbbad, -v111
	v_add_f16_e32 v116, v116, v124
	v_add_f16_e32 v99, v107, v99
	;; [unrolled: 1-line block ×3, first 2 shown]
	v_fma_f16 v120, 0xbbad, v73, v145
	v_mul_f16_e64 v124, 0x3beb, v143
	v_add_f16_e64 v118, v144, v128
	v_fmac_f16_e32 v111, 0xbbad, v76
	v_mul_f16_e64 v128, 0x3beb, v109
	v_add_f16_e64 v120, v120, v131
	v_fma_f16 v131, v76, 0xb08e, -v124
	v_mul_f16_e64 v143, 0x3853, v143
	v_fmac_f16_e32 v124, 0xb08e, v76
	v_add_f16_e32 v111, v111, v122
	v_fma_f16 v122, 0xb08e, v73, v128
	v_add_f16_e64 v131, v131, v137
	v_fma_f16 v128, v73, 0xb08e, -v128
	v_fma_f16 v137, v76, 0x3abb, -v143
	v_add_f16_e64 v124, v124, v133
	v_sub_f16_e64 v133, v70, v71
	v_add_f16_e64 v122, v122, v138
	v_mul_f16_e32 v109, 0x3853, v109
	v_add_f16_e64 v128, v128, v136
	v_add_f16_e64 v136, v137, v141
	;; [unrolled: 1-line block ×3, first 2 shown]
	v_mul_f16_e64 v141, 0xbbeb, v133
	v_sub_f16_e32 v72, v72, v74
	v_fma_f16 v144, v73, 0xbbad, -v145
	v_fma_f16 v137, 0x3abb, v73, v109
	v_fma_f16 v73, v73, 0x3abb, -v109
	v_add_f16_e32 v70, v70, v71
	v_fma_f16 v71, v138, 0xb08e, -v141
	v_mul_f16_e32 v74, 0xbbeb, v72
	v_mul_f16_e32 v109, 0x3482, v72
	v_add_f16_e32 v69, v73, v69
	v_fmac_f16_e64 v143, 0x3abb, v76
	v_add_f16_e32 v71, v71, v106
	v_fmamk_f16 v73, v70, 0xb08e, v74
	v_mul_f16_e64 v106, 0x3482, v133
	v_fma_f16 v74, v70, 0xb08e, -v74
	v_add_f16_e64 v76, v137, v113
	v_mul_f16_e64 v113, 0x3b47, v133
	v_add_f16_e32 v73, v73, v80
	v_fma_f16 v80, v138, 0xbbad, -v106
	v_add_f16_e32 v74, v74, v75
	v_fmamk_f16 v75, v70, 0xbbad, v109
	v_fmac_f16_e64 v106, 0xbbad, v138
	v_add_f16_e64 v126, v144, v126
	v_add_f16_e32 v80, v80, v103
	v_fma_f16 v103, v70, 0xbbad, -v109
	v_add_f16_e32 v75, v75, v116
	v_fma_f16 v109, v138, 0x36a6, -v113
	v_mul_f16_e32 v116, 0x3b47, v72
	v_add_f16_e32 v99, v106, v99
	v_add_f16_e32 v103, v103, v107
	v_mul_f16_e64 v106, 0xb853, v133
	v_add_f16_e32 v107, v109, v118
	v_fmamk_f16 v109, v70, 0x36a6, v116
	v_fmac_f16_e64 v113, 0x36a6, v138
	v_fma_f16 v116, v70, 0x36a6, -v116
	v_mul_f16_e64 v137, 0xb853, v72
	v_fma_f16 v118, v138, 0x3abb, -v106
	v_fmac_f16_e64 v106, 0x3abb, v138
	v_add_f16_e32 v111, v113, v111
	v_add_f16_e32 v113, v116, v126
	v_fma_f16 v126, v70, 0x3abb, -v137
	v_add_f16_e32 v109, v109, v120
	v_add_f16_e64 v116, v118, v131
	v_fma_f16 v118, 0x3abb, v70, v137
	v_mul_f16_e64 v120, 0xba0c, v133
	v_mul_f16_e32 v72, 0xba0c, v72
	v_add_f16_e32 v106, v106, v124
	v_add_f16_e64 v124, v126, v128
	v_sub_f16_e32 v126, v64, v66
	v_add_f16_e64 v128, v67, v68
	v_sub_f16_e32 v67, v67, v68
	v_add_f16_e64 v45, v143, v45
	v_add_f16_e32 v118, v118, v122
	v_fma_f16 v122, v138, 0xb93d, -v120
	v_fma_f16 v131, 0xb93d, v70, v72
	v_mul_f16_e32 v68, 0xba0c, v126
	v_fmac_f16_e64 v120, 0xb93d, v138
	v_fma_f16 v70, v70, 0xb93d, -v72
	v_add_f16_e32 v64, v64, v66
	v_mul_f16_e32 v66, 0xba0c, v67
	v_fmac_f16_e64 v141, 0xb08e, v138
	v_fma_f16 v72, v128, 0xb93d, -v68
	v_add_f16_e32 v45, v120, v45
	v_add_f16_e32 v69, v70, v69
	v_mul_f16_e32 v70, 0x3beb, v126
	v_fmamk_f16 v120, v64, 0xb93d, v66
	v_add_f16_e64 v78, v141, v78
	v_add_f16_e32 v71, v72, v71
	v_fmac_f16_e64 v68, 0xb93d, v128
	v_fma_f16 v66, v64, 0xb93d, -v66
	v_fma_f16 v72, v128, 0xb08e, -v70
	v_add_f16_e32 v73, v120, v73
	v_mul_f16_e32 v120, 0x3beb, v67
	v_add_f16_e32 v68, v68, v78
	v_add_f16_e32 v66, v66, v74
	;; [unrolled: 1-line block ×3, first 2 shown]
	v_mul_f16_e32 v74, 0xb853, v126
	v_fmamk_f16 v78, v64, 0xb08e, v120
	v_fma_f16 v80, v64, 0xb08e, -v120
	v_mul_f16_e32 v120, 0xb853, v67
	v_add_f16_e64 v76, v131, v76
	v_fmac_f16_e64 v70, 0xb08e, v128
	v_fma_f16 v131, v128, 0x3abb, -v74
	v_add_f16_e32 v75, v78, v75
	v_add_f16_e32 v78, v80, v103
	v_fmamk_f16 v80, v64, 0x3abb, v120
	v_mul_f16_e32 v103, 0xb482, v126
	v_fmac_f16_e64 v74, 0x3abb, v128
	v_add_f16_e32 v70, v70, v99
	v_add_f16_e64 v99, v131, v107
	v_fma_f16 v107, v64, 0x3abb, -v120
	v_add_f16_e32 v80, v80, v109
	v_mul_f16_e32 v109, 0xb482, v67
	v_fma_f16 v120, v128, 0xbbad, -v103
	v_add_f16_e32 v74, v74, v111
	v_mul_f16_e32 v111, 0x3b47, v126
	v_add_f16_e64 v122, v122, v136
	v_add_f16_e32 v107, v107, v113
	v_fmamk_f16 v113, v64, 0xbbad, v109
	v_add_f16_e32 v116, v120, v116
	v_fmac_f16_e64 v103, 0xbbad, v128
	v_fma_f16 v109, v64, 0xbbad, -v109
	v_fma_f16 v120, v128, 0x36a6, -v111
	v_add_f16_e32 v113, v113, v118
	v_mul_f16_e32 v67, 0x3b47, v67
	v_add_f16_e32 v103, v103, v106
	v_add_f16_e32 v106, v109, v124
	;; [unrolled: 1-line block ×3, first 2 shown]
	v_sub_f16_e32 v118, v54, v56
	v_sub_f16_e32 v122, v60, v62
	v_fmamk_f16 v120, v64, 0x36a6, v67
	v_fmac_f16_e64 v111, 0x36a6, v128
	v_add_f16_e32 v60, v60, v62
	v_mul_f16_e32 v62, 0xb482, v118
	v_fma_f16 v64, v64, 0x36a6, -v67
	v_add_f16_e32 v54, v54, v56
	v_mul_f16_e32 v56, 0xb482, v122
	v_add_f16_e32 v67, v120, v76
	v_fma_f16 v76, v60, 0xbbad, -v62
	v_add_f16_e32 v45, v111, v45
	v_add_f16_e32 v64, v64, v69
	v_fmamk_f16 v69, v54, 0xbbad, v56
	v_mul_f16_e32 v111, 0x3853, v118
	v_fma_f16 v56, v54, 0xbbad, -v56
	v_add_f16_e32 v71, v76, v71
	v_fmac_f16_e32 v62, 0xbbad, v60
	v_add_f16_e32 v69, v69, v73
	v_fma_f16 v73, v60, 0x3abb, -v111
	v_mul_f16_e32 v76, 0x3853, v122
	v_add_f16_e32 v56, v56, v66
	v_mul_f16_e32 v66, 0xba0c, v118
	v_add_f16_e32 v62, v62, v68
	v_add_f16_e32 v68, v73, v72
	v_fmamk_f16 v72, v54, 0x3abb, v76
	v_fma_f16 v73, v54, 0x3abb, -v76
	v_fma_f16 v76, v60, 0xb93d, -v66
	v_mul_f16_e32 v120, 0xba0c, v122
	v_fmac_f16_e32 v111, 0x3abb, v60
	v_add_f16_e32 v72, v72, v75
	v_add_f16_e32 v73, v73, v78
	;; [unrolled: 1-line block ×3, first 2 shown]
	v_fmamk_f16 v76, v54, 0xb93d, v120
	v_mul_f16_e32 v78, 0x3b47, v118
	v_add_f16_e32 v70, v111, v70
	v_fmac_f16_e32 v66, 0xb93d, v60
	v_fma_f16 v99, v54, 0xb93d, -v120
	v_mul_f16_e32 v111, 0x3b47, v122
	v_add_f16_e32 v76, v76, v80
	v_fma_f16 v80, v60, 0x36a6, -v78
	v_add_f16_e32 v66, v66, v74
	v_add_f16_e32 v74, v99, v107
	v_fmamk_f16 v99, v54, 0x36a6, v111
	v_fmac_f16_e32 v78, 0x36a6, v60
	v_add_f16_e32 v80, v80, v116
	v_mul_f16_e32 v116, 0xbbeb, v122
	v_pack_b32_f16 v46, v46, v58
	v_add_f16_e32 v99, v99, v113
	v_add_f16_e32 v78, v78, v103
	v_fma_f16 v103, v54, 0x36a6, -v111
	v_fmamk_f16 v113, v54, 0xb08e, v116
	v_fma_f16 v54, v54, 0xb08e, -v116
	v_pack_b32_f16 v58, v81, v83
	v_mul_f16_e32 v107, 0xbbeb, v118
	v_pack_b32_f16 v81, v97, v98
	scratch_store_b64 off, v[19:20], off offset:100 ; 8-byte Folded Spill
	v_add_f16_e32 v54, v54, v64
	v_pack_b32_f16 v64, v85, v96
	global_wb scope:SCOPE_SE
	s_wait_storecnt 0x0
	s_barrier_signal -1
	s_barrier_wait -1
	global_inv scope:SCOPE_SE
	ds_store_2addr_b32 v102, v46, v58 offset1:51
	ds_store_2addr_b32 v102, v64, v81 offset0:102 offset1:153
	v_pack_b32_f16 v46, v198, v199
	v_pack_b32_f16 v58, v201, v202
	v_fma_f16 v111, v60, 0xb08e, -v107
	v_pack_b32_f16 v64, v203, v206
	v_pack_b32_f16 v81, v197, v200
	v_fmac_f16_e32 v107, 0xb08e, v60
	v_pack_b32_f16 v83, v95, v195
	v_pack_b32_f16 v85, v93, v94
	;; [unrolled: 1-line block ×6, first 2 shown]
	v_lshlrev_b32_e32 v195, 2, v52
	ds_store_2addr_b32 v102, v46, v58 offset0:204 offset1:255
	ds_store_2addr_b32 v91, v64, v81 offset0:50 offset1:101
	;; [unrolled: 1-line block ×5, first 2 shown]
	v_pack_b32_f16 v46, v213, v214
	v_pack_b32_f16 v47, v216, v218
	v_add_f16_e32 v60, v103, v106
	v_add_f16_e32 v103, v111, v109
	;; [unrolled: 1-line block ×3, first 2 shown]
	v_pack_b32_f16 v58, v220, v221
	v_pack_b32_f16 v64, v222, v223
	v_add_f16_e32 v45, v107, v45
	v_pack_b32_f16 v81, v217, v219
	v_pack_b32_f16 v82, v211, v215
	v_pack_b32_f16 v52, v209, v210
	v_pack_b32_f16 v48, v48, v100
	v_pack_b32_f16 v77, v77, v79
	v_pack_b32_f16 v69, v71, v69
	v_add_nc_u32_e32 v71, 0x1000, v195
	ds_store_2addr_b32 v88, v46, v47 offset0:202 offset1:253
	ds_store_2addr_b32 v89, v58, v64 offset0:48 offset1:99
	;; [unrolled: 1-line block ×5, first 2 shown]
	v_pack_b32_f16 v46, v68, v72
	v_pack_b32_f16 v47, v75, v76
	;; [unrolled: 1-line block ×4, first 2 shown]
	v_add_nc_u32_e32 v58, 0x1400, v195
	v_pack_b32_f16 v45, v45, v54
	v_pack_b32_f16 v54, v78, v60
	;; [unrolled: 1-line block ×4, first 2 shown]
	v_add_nc_u32_e32 v66, 0x1600, v195
	v_pack_b32_f16 v56, v62, v56
	ds_store_2addr_b32 v71, v46, v47 offset0:200 offset1:251
	ds_store_2addr_b32 v58, v48, v52 offset0:46 offset1:97
	ds_store_2addr_b32 v58, v45, v54 offset0:148 offset1:199
	ds_store_2addr_b32 v66, v60, v64 offset0:122 offset1:173
	ds_store_b32 v195, v56 offset:6528
	v_lshlrev_b32_e32 v45, 3, v130
	global_wb scope:SCOPE_SE
	s_wait_dscnt 0x0
	s_barrier_signal -1
	s_barrier_wait -1
	global_inv scope:SCOPE_SE
	global_load_b64 v[207:208], v45, s[0:1] offset:2176
	v_lshlrev_b32_e32 v47, 3, v49
	v_lshlrev_b32_e32 v49, 3, v50
	s_clause 0x9
	global_load_b64 v[50:51], v51, s[0:1] offset:2176
	global_load_b64 v[52:53], v53, s[0:1] offset:2176
	;; [unrolled: 1-line block ×10, first 2 shown]
	ds_load_2addr_b32 v[69:70], v102 offset1:51
	ds_load_2addr_b32 v[67:68], v87 offset0:126 offset1:177
	ds_load_2addr_b32 v[71:72], v86 offset0:98 offset1:149
	;; [unrolled: 1-line block ×12, first 2 shown]
	ds_load_b32 v113, v102 offset:6528
	s_add_nc_u64 s[0:1], s[12:13], 0x1a4c
	s_wait_dscnt 0xd
	v_lshrrev_b32_e32 v83, 16, v69
	s_wait_dscnt 0xc
	v_lshrrev_b32_e32 v85, 16, v68
	;; [unrolled: 2-line block ×4, first 2 shown]
	v_lshrrev_b32_e32 v107, 16, v72
	v_lshrrev_b32_e32 v109, 16, v76
	s_wait_dscnt 0x8
	v_lshrrev_b32_e32 v111, 16, v77
	s_wait_dscnt 0x7
	v_lshrrev_b32_e32 v116, 16, v79
	v_lshrrev_b32_e32 v118, 16, v78
	v_lshrrev_b32_e32 v120, 16, v80
	s_wait_dscnt 0x6
	v_lshrrev_b32_e32 v122, 16, v81
	s_wait_dscnt 0x5
	v_lshrrev_b32_e32 v124, 16, v95
	;; [unrolled: 6-line block ×3, first 2 shown]
	v_lshrrev_b32_e32 v136, 16, v98
	v_lshrrev_b32_e32 v137, 16, v100
	s_wait_dscnt 0x1
	v_lshrrev_b32_e32 v141, 16, v221
	v_lshrrev_b32_e32 v138, 16, v219
	;; [unrolled: 1-line block ×4, first 2 shown]
	s_wait_dscnt 0x0
	v_lshrrev_b32_e32 v147, 16, v113
	v_lshrrev_b32_e32 v103, 16, v70
	;; [unrolled: 1-line block ×5, first 2 shown]
	s_wait_loadcnt 0xa
	v_lshrrev_b32_e32 v209, 16, v207
	v_lshrrev_b32_e32 v218, 16, v208
	s_wait_loadcnt 0x9
	v_lshrrev_b32_e32 v212, 16, v50
	v_lshrrev_b32_e32 v213, 16, v51
	v_mul_f16_e64 v144, v85, v209
	v_mul_f16_e64 v146, v68, v209
	s_wait_loadcnt 0x8
	v_lshrrev_b32_e32 v211, 16, v52
	s_wait_loadcnt 0x4
	v_lshrrev_b32_e32 v217, 16, v46
	v_lshrrev_b32_e32 v215, 16, v47
	v_fma_f16 v68, v68, v207, -v144
	v_mul_f16_e64 v144, v101, v218
	v_fmac_f16_e64 v146, v85, v207
	v_mul_f16_e64 v85, v71, v218
	v_mul_f16_e64 v148, v106, v217
	s_wait_loadcnt 0x3
	v_lshrrev_b32_e32 v216, 16, v48
	v_fma_f16 v71, v71, v208, -v144
	v_mul_f16_e64 v144, v75, v217
	v_fmac_f16_e64 v85, v101, v208
	v_mul_f16_e64 v101, v107, v215
	v_fma_f16 v75, v75, v46, -v148
	v_lshrrev_b32_e32 v214, 16, v49
	v_fmac_f16_e64 v144, v106, v46
	v_mul_f16_e64 v106, v72, v215
	v_fma_f16 v72, v72, v47, -v101
	v_mul_f16_e64 v101, v109, v216
	v_mul_f16_e64 v148, v76, v216
	v_lshrrev_b32_e32 v66, 16, v53
	v_fmac_f16_e32 v106, v107, v47
	v_mul_f16_e64 v107, v111, v214
	v_fma_f16 v76, v76, v48, -v101
	v_fmac_f16_e64 v148, v109, v48
	v_mul_f16_e64 v101, v77, v214
	v_mul_f16_e64 v109, v116, v212
	v_fma_f16 v77, v77, v49, -v107
	v_mul_f16_e64 v107, v79, v212
	v_lshrrev_b32_e32 v210, 16, v54
	v_fmac_f16_e32 v101, v111, v49
	v_fma_f16 v79, v79, v50, -v109
	v_mul_f16_e64 v109, v118, v213
	v_mul_f16_e64 v111, v78, v213
	v_fmac_f16_e32 v107, v116, v50
	v_mul_f16_e64 v116, v120, v211
	v_lshrrev_b32_e32 v18, 16, v55
	v_fma_f16 v78, v78, v51, -v109
	v_mul_f16_e64 v109, v80, v211
	v_fmac_f16_e32 v111, v118, v51
	v_mul_f16_e32 v118, v122, v66
	v_fma_f16 v80, v80, v52, -v116
	v_mul_f16_e32 v116, v81, v66
	v_fmac_f16_e32 v109, v120, v52
	v_mul_f16_e64 v120, v95, v210
	v_fma_f16 v81, v81, v53, -v118
	v_mul_f16_e64 v118, v124, v210
	v_lshrrev_b32_e32 v205, 16, v56
	v_fmac_f16_e32 v116, v122, v53
	v_mul_f16_e32 v122, v126, v18
	v_fmac_f16_e32 v120, v124, v54
	v_fma_f16 v95, v95, v54, -v118
	v_mul_f16_e32 v118, v82, v18
	v_mul_f16_e64 v124, v128, v205
	v_lshrrev_b32_e32 v206, 16, v57
	v_fma_f16 v82, v82, v55, -v122
	v_mul_f16_e64 v122, v96, v205
	v_fmac_f16_e32 v118, v126, v55
	v_fma_f16 v96, v96, v56, -v124
	v_lshrrev_b32_e32 v204, 16, v58
	v_mul_f16_e64 v124, v131, v206
	v_mul_f16_e64 v126, v97, v206
	v_lshrrev_b32_e32 v202, 16, v59
	v_fmac_f16_e64 v122, v128, v56
	v_mul_f16_e64 v128, v133, v204
	v_fma_f16 v97, v97, v57, -v124
	v_mul_f16_e64 v124, v99, v204
	v_fmac_f16_e64 v126, v131, v57
	v_mul_f16_e64 v131, v136, v202
	s_wait_loadcnt 0x2
	v_lshrrev_b32_e32 v203, 16, v60
	s_wait_loadcnt 0x1
	v_lshrrev_b32_e32 v199, 16, v62
	v_fma_f16 v99, v99, v58, -v128
	v_fmac_f16_e64 v124, v133, v58
	v_mul_f16_e64 v128, v98, v202
	v_fma_f16 v98, v98, v59, -v131
	v_lshrrev_b32_e32 v201, 16, v61
	v_mul_f16_e64 v131, v137, v203
	v_mul_f16_e64 v133, v100, v203
	v_lshrrev_b32_e32 v200, 16, v63
	v_mul_f16_e64 v149, v221, v199
	s_wait_loadcnt 0x0
	v_lshrrev_b32_e32 v198, 16, v64
	v_fma_f16 v100, v100, v60, -v131
	v_fmac_f16_e64 v133, v137, v60
	v_mul_f16_e64 v131, v219, v201
	v_mul_f16_e64 v137, v141, v199
	v_fmac_f16_e64 v149, v141, v62
	v_mul_f16_e64 v141, v220, v200
	v_lshrrev_b32_e32 v197, 16, v65
	v_mul_f16_e64 v151, v222, v198
	v_fmac_f16_e64 v128, v136, v59
	v_mul_f16_e64 v136, v138, v201
	v_fmac_f16_e64 v131, v138, v61
	v_mul_f16_e64 v138, v143, v200
	v_mul_f16_e64 v150, v145, v198
	v_fmac_f16_e64 v141, v143, v63
	v_mul_f16_e64 v143, v147, v197
	v_mul_f16_e64 v152, v113, v197
	v_fmac_f16_e64 v151, v145, v64
	v_add_f16_e64 v145, v68, v71
	v_add_f16_e64 v153, v148, v101
	v_fma_f16 v113, v113, v65, -v143
	v_add_f16_e64 v143, v69, v68
	v_fmac_f16_e64 v152, v147, v65
	v_add_f16_e64 v147, v146, v85
	v_fma_f16 v145, -0.5, v145, v69
	v_sub_f16_e64 v69, v146, v85
	v_add_f16_e64 v146, v83, v146
	v_sub_f16_e32 v68, v68, v71
	v_fmac_f16_e64 v83, -0.5, v147
	v_add_f16_e64 v143, v143, v71
	v_fma_f16 v147, 0x3aee, v69, v145
	v_fmac_f16_e64 v145, 0xbaee, v69
	v_add_f16_e32 v69, v75, v72
	v_add_f16_e64 v71, v146, v85
	v_fmamk_f16 v85, v68, 0xbaee, v83
	v_add_f16_e64 v146, v70, v75
	v_fmac_f16_e32 v83, 0x3aee, v68
	v_add_f16_e64 v68, v144, v106
	v_fmac_f16_e32 v70, -0.5, v69
	v_sub_f16_e64 v69, v144, v106
	v_add_f16_e64 v146, v146, v72
	v_add_f16_e64 v144, v103, v144
	v_fmac_f16_e32 v103, -0.5, v68
	v_sub_f16_e32 v68, v75, v72
	v_fmamk_f16 v72, v69, 0x3aee, v70
	v_fmac_f16_e32 v70, 0xbaee, v69
	v_add_f16_e32 v69, v76, v77
	v_add_f16_e64 v75, v144, v106
	v_fmamk_f16 v106, v68, 0xbaee, v103
	v_fmac_f16_e32 v103, 0x3aee, v68
	v_add_f16_e64 v144, v73, v76
	v_fma_f16 v235, -0.5, v69, v73
	ds_load_2addr_b32 v[68:69], v102 offset0:204 offset1:255
	v_sub_f16_e64 v73, v148, v101
	v_add_f16_e64 v148, v93, v148
	v_fmac_f16_e64 v93, -0.5, v153
	v_sub_f16_e32 v76, v76, v77
	v_add_f16_e64 v144, v144, v77
	v_fma_f16 v153, 0x3aee, v73, v235
	v_fmac_f16_e64 v235, 0xbaee, v73
	v_add_f16_e32 v73, v79, v78
	v_add_f16_e64 v101, v148, v101
	v_fma_f16 v148, 0xbaee, v76, v93
	v_add_f16_e32 v77, v107, v111
	v_fmac_f16_e32 v93, 0x3aee, v76
	v_add_f16_e32 v76, v74, v79
	v_fmac_f16_e32 v74, -0.5, v73
	v_sub_f16_e32 v73, v107, v111
	v_add_f16_e32 v107, v94, v107
	v_fmac_f16_e32 v94, -0.5, v77
	v_add_f16_e64 v236, v76, v78
	v_sub_f16_e32 v76, v79, v78
	v_fma_f16 v237, 0x3aee, v73, v74
	v_fmac_f16_e32 v74, 0xbaee, v73
	s_wait_dscnt 0x0
	v_lshrrev_b32_e32 v238, 16, v68
	v_add_f16_e32 v73, v80, v81
	v_add_f16_e32 v77, v68, v80
	;; [unrolled: 1-line block ×3, first 2 shown]
	v_fmamk_f16 v111, v76, 0xbaee, v94
	v_fmac_f16_e32 v94, 0x3aee, v76
	v_add_f16_e32 v76, v109, v116
	v_add_f16_e64 v78, v238, v109
	v_fma_f16 v239, -0.5, v73, v68
	v_sub_f16_e32 v68, v109, v116
	v_add_f16_e32 v109, v77, v81
	v_sub_f16_e32 v73, v80, v81
	ds_load_2addr_b32 v[80:81], v91 offset0:50 offset1:101
	v_fmac_f16_e64 v238, -0.5, v76
	v_add_f16_e32 v76, v95, v82
	v_fma_f16 v136, v219, v61, -v136
	v_fma_f16 v240, 0x3aee, v68, v239
	v_lshrrev_b32_e32 v219, 16, v69
	v_add_f16_e32 v77, v69, v95
	v_fmac_f16_e32 v69, -0.5, v76
	v_sub_f16_e32 v76, v120, v118
	v_fmac_f16_e64 v239, 0xbaee, v68
	v_add_f16_e32 v68, v120, v118
	v_fma_f16 v241, 0xbaee, v73, v238
	v_fmac_f16_e64 v238, 0x3aee, v73
	v_fma_f16 v242, 0x3aee, v76, v69
	v_fmac_f16_e32 v69, 0xbaee, v76
	v_pack_b32_f16 v71, v143, v71
	v_pack_b32_f16 v73, v146, v75
	v_add_f16_e64 v75, v219, v120
	v_fmac_f16_e64 v219, -0.5, v68
	v_sub_f16_e32 v68, v95, v82
	v_add_f16_e32 v76, v96, v97
	v_fma_f16 v138, v220, v63, -v138
	v_add_f16_e32 v116, v78, v116
	ds_store_2addr_b32 v102, v71, v73 offset1:51
	v_fma_f16 v120, 0xbaee, v68, v219
	s_wait_dscnt 0x1
	v_fma_f16 v71, -0.5, v76, v80
	v_sub_f16_e32 v73, v122, v126
	v_fmac_f16_e64 v219, 0x3aee, v68
	v_lshrrev_b32_e32 v220, 16, v80
	v_add_f16_e32 v68, v122, v126
	ds_load_2addr_b32 v[78:79], v91 offset0:152 offset1:203
	v_add_f16_e32 v118, v75, v118
	v_pack_b32_f16 v75, v70, v103
	v_fmamk_f16 v70, v73, 0x3aee, v71
	v_fmac_f16_e32 v71, 0xbaee, v73
	v_add_f16_e64 v73, v220, v122
	v_fmac_f16_e64 v220, -0.5, v68
	v_add_f16_e32 v68, v99, v98
	v_fma_f16 v137, v221, v62, -v137
	v_add_f16_e32 v95, v77, v82
	v_sub_f16_e32 v76, v96, v97
	v_lshrrev_b32_e32 v221, 16, v81
	v_add_f16_e32 v77, v81, v99
	v_fmac_f16_e32 v81, -0.5, v68
	v_sub_f16_e64 v68, v124, v128
	v_fma_f16 v150, v222, v64, -v150
	v_add_f16_e64 v222, v73, v126
	v_fma_f16 v224, 0xbaee, v76, v220
	v_fmac_f16_e64 v220, 0x3aee, v76
	v_add_f16_e32 v76, v77, v98
	v_fmamk_f16 v77, v68, 0x3aee, v81
	v_fmac_f16_e32 v81, 0xbaee, v68
	v_pack_b32_f16 v68, v145, v83
	v_add_f16_e64 v73, v124, v128
	v_add_f16_e64 v103, v100, v136
	v_pack_b32_f16 v72, v72, v106
	v_pack_b32_f16 v83, v153, v148
	scratch_store_b32 off, v18, off offset:112 ; 4-byte Folded Spill
	v_add_f16_e64 v82, v221, v124
	v_fmac_f16_e64 v221, -0.5, v73
	ds_store_2addr_b32 v86, v68, v75 offset0:98 offset1:149
	ds_store_2addr_b32 v88, v72, v83 offset0:100 offset1:151
	s_wait_dscnt 0x2
	v_fma_f16 v73, -0.5, v103, v78
	v_lshrrev_b32_e32 v223, 16, v78
	v_sub_f16_e64 v75, v133, v131
	v_add_f16_e64 v68, v133, v131
	v_add_f16_e64 v21, v82, v128
	v_sub_f16_e32 v98, v99, v98
	v_add_f16_e64 v82, v223, v133
	v_fmamk_f16 v72, v75, 0x3aee, v73
	v_fmac_f16_e32 v73, 0xbaee, v75
	v_add_f16_e64 v75, v137, v138
	v_lshrrev_b32_e32 v225, 16, v79
	v_fmac_f16_e64 v223, -0.5, v68
	v_sub_f16_e64 v68, v100, v136
	v_add_f16_e64 v20, v82, v131
	v_add_f16_e64 v82, v79, v137
	v_fmac_f16_e32 v79, -0.5, v75
	v_sub_f16_e64 v75, v149, v141
	v_fma_f16 v19, 0xbaee, v98, v221
	v_fmac_f16_e64 v221, 0x3aee, v98
	v_add_f16_e64 v98, v225, v149
	v_fma_f16 v18, 0xbaee, v68, v223
	v_fmac_f16_e64 v223, 0x3aee, v68
	v_add_f16_e64 v68, v149, v141
	v_fmamk_f16 v83, v75, 0x3aee, v79
	v_fmac_f16_e32 v79, 0xbaee, v75
	v_add_f16_e64 v75, v150, v113
	v_add_f16_e64 v22, v98, v141
	;; [unrolled: 1-line block ×3, first 2 shown]
	v_fmac_f16_e64 v225, -0.5, v68
	v_sub_f16_e64 v68, v137, v138
	v_add_f16_e64 v99, v67, v150
	v_fmac_f16_e32 v67, -0.5, v75
	v_sub_f16_e64 v75, v151, v152
	v_add_f16_e64 v103, v226, v151
	v_fmac_f16_e64 v226, -0.5, v98
	v_sub_f16_e64 v98, v150, v113
	v_add_f16_e32 v78, v78, v100
	v_fma_f16 v23, 0xbaee, v68, v225
	v_fmac_f16_e64 v225, 0x3aee, v68
	v_fmamk_f16 v68, v75, 0x3aee, v67
	v_fmac_f16_e32 v67, 0xbaee, v75
	v_add_f16_e32 v75, v80, v96
	v_pack_b32_f16 v96, v144, v101
	v_pack_b32_f16 v100, v236, v107
	v_fma_f16 v24, 0xbaee, v98, v226
	v_fmac_f16_e64 v226, 0x3aee, v98
	v_pack_b32_f16 v98, v147, v85
	v_add_f16_e64 v85, v78, v136
	v_pack_b32_f16 v78, v235, v93
	v_pack_b32_f16 v74, v74, v94
	v_add_f16_e32 v75, v75, v97
	ds_store_2addr_b32 v102, v96, v100 offset0:102 offset1:153
	v_pack_b32_f16 v93, v237, v111
	v_pack_b32_f16 v96, v240, v241
	;; [unrolled: 1-line block ×4, first 2 shown]
	v_add_f16_e32 v80, v99, v113
	v_pack_b32_f16 v97, v239, v238
	v_pack_b32_f16 v99, v69, v219
	v_add_f16_e64 v82, v82, v138
	ds_store_2addr_b32 v86, v78, v74 offset0:200 offset1:251
	ds_store_2addr_b32 v88, v93, v96 offset0:202 offset1:253
	;; [unrolled: 1-line block ×3, first 2 shown]
	v_pack_b32_f16 v74, v242, v120
	v_pack_b32_f16 v93, v70, v224
	;; [unrolled: 1-line block ×4, first 2 shown]
	v_add_f16_e64 v25, v103, v152
	v_pack_b32_f16 v94, v71, v220
	v_pack_b32_f16 v96, v81, v221
	ds_store_2addr_b32 v84, v97, v99 offset0:46 offset1:97
	v_pack_b32_f16 v97, v77, v19
	v_pack_b32_f16 v99, v72, v18
	ds_store_2addr_b32 v89, v74, v93 offset0:48 offset1:99
	ds_store_2addr_b32 v91, v78, v95 offset0:50 offset1:101
	;; [unrolled: 1-line block ×3, first 2 shown]
	v_pack_b32_f16 v74, v85, v20
	v_pack_b32_f16 v93, v82, v22
	;; [unrolled: 1-line block ×5, first 2 shown]
	ds_store_2addr_b32 v89, v97, v99 offset0:150 offset1:201
	v_pack_b32_f16 v94, v83, v23
	v_pack_b32_f16 v97, v68, v24
	;; [unrolled: 1-line block ×3, first 2 shown]
	ds_store_2addr_b32 v91, v74, v93 offset0:152 offset1:203
	ds_store_2addr_b32 v92, v78, v95 offset0:122 offset1:173
	;; [unrolled: 1-line block ×4, first 2 shown]
	ds_store_b32 v102, v99 offset:6528
	v_lshlrev_b32_e32 v93, 2, v130
	global_wb scope:SCOPE_SE
	s_wait_storecnt_dscnt 0x0
	s_barrier_signal -1
	s_barrier_wait -1
	global_inv scope:SCOPE_SE
	s_clause 0x10
	global_load_b32 v74, v[16:17], off offset:6732
	global_load_b32 v78, v93, s[0:1] offset:396
	global_load_b32 v100, v93, s[0:1] offset:792
	;; [unrolled: 1-line block ×16, first 2 shown]
	ds_load_2addr_b32 v[94:95], v102 offset1:99
	s_wait_dscnt 0x0
	v_lshrrev_b32_e32 v96, 16, v94
	v_lshrrev_b32_e32 v98, 16, v95
	s_wait_loadcnt 0x10
	v_lshrrev_b32_e32 v97, 16, v74
	s_wait_loadcnt 0xf
	v_lshrrev_b32_e32 v99, 16, v78
	s_delay_alu instid0(VALU_DEP_2) | instskip(SKIP_1) | instid1(VALU_DEP_3)
	v_mul_f16_e64 v131, v96, v97
	v_mul_f16_e32 v97, v94, v97
	v_mul_f16_e64 v133, v98, v99
	v_mul_f16_e32 v99, v95, v99
	s_wait_loadcnt 0xb
	v_lshrrev_b32_e32 v141, 16, v106
	v_fma_f16 v94, v94, v74, -v131
	v_fmac_f16_e32 v97, v96, v74
	v_fma_f16 v74, v95, v78, -v133
	v_fmac_f16_e32 v99, v98, v78
	v_lshrrev_b32_e32 v98, 16, v100
	v_lshrrev_b32_e32 v133, 16, v101
	v_pack_b32_f16 v78, v94, v97
	s_wait_loadcnt 0x9
	v_lshrrev_b32_e32 v145, 16, v109
	v_pack_b32_f16 v94, v74, v99
	v_add_nc_u32_e32 v74, 0x200, v102
	ds_store_2addr_b32 v102, v78, v94 offset1:99
	ds_load_2addr_b32 v[94:95], v74 offset0:70 offset1:169
	ds_load_2addr_b32 v[96:97], v91 offset0:140 offset1:239
	s_wait_dscnt 0x1
	v_lshrrev_b32_e32 v78, 16, v94
	v_mul_f16_e64 v137, v94, v98
	v_lshrrev_b32_e32 v131, 16, v95
	s_delay_alu instid0(VALU_DEP_3)
	v_mul_f16_e64 v136, v78, v98
	ds_load_2addr_b32 v[98:99], v88 offset0:82 offset1:181
	v_fmac_f16_e64 v137, v78, v100
	v_mul_f16_e64 v138, v131, v133
	v_mul_f16_e64 v78, v95, v133
	v_fma_f16 v136, v94, v100, -v136
	v_lshrrev_b32_e32 v94, 16, v103
	s_wait_dscnt 0x1
	v_lshrrev_b32_e32 v100, 16, v96
	v_lshrrev_b32_e32 v133, 16, v97
	v_fma_f16 v138, v95, v101, -v138
	v_fmac_f16_e64 v78, v131, v101
	v_mul_f16_e64 v143, v96, v94
	v_mul_f16_e32 v94, v100, v94
	v_mul_f16_e64 v101, v133, v141
	v_lshrrev_b32_e32 v131, 16, v107
	v_pack_b32_f16 v78, v138, v78
	v_fmac_f16_e64 v143, v100, v103
	v_fma_f16 v96, v96, v103, -v94
	v_mul_f16_e64 v100, v97, v141
	ds_load_2addr_b32 v[94:95], v89 offset0:24 offset1:123
	v_fma_f16 v97, v97, v106, -v101
	s_wait_dscnt 0x1
	v_lshrrev_b32_e32 v103, 16, v98
	v_mul_f16_e64 v141, v98, v131
	v_fmac_f16_e64 v100, v133, v106
	v_lshrrev_b32_e32 v144, 16, v99
	v_pack_b32_f16 v106, v136, v137
	v_mul_f16_e64 v131, v103, v131
	v_fmac_f16_e64 v141, v103, v107
	v_pack_b32_f16 v100, v97, v100
	v_mul_f16_e64 v101, v144, v145
	v_mul_f16_e64 v103, v99, v145
	v_fma_f16 v98, v98, v107, -v131
	v_pack_b32_f16 v107, v96, v143
	ds_load_2addr_b32 v[96:97], v90 offset0:94 offset1:193
	ds_store_2addr_b32 v74, v106, v78 offset0:70 offset1:169
	v_add_nc_u32_e32 v78, 0x1200, v102
	v_fma_f16 v101, v99, v109, -v101
	v_fmac_f16_e64 v103, v144, v109
	s_wait_loadcnt 0x8
	v_lshrrev_b32_e32 v131, 16, v111
	s_wait_dscnt 0x2
	v_lshrrev_b32_e32 v109, 16, v94
	v_lshrrev_b32_e32 v133, 16, v95
	s_wait_loadcnt 0x7
	v_lshrrev_b32_e32 v136, 16, v113
	v_pack_b32_f16 v106, v98, v141
	ds_load_2addr_b32 v[98:99], v78 offset0:36 offset1:135
	v_pack_b32_f16 v101, v101, v103
	ds_store_2addr_b32 v91, v107, v100 offset0:140 offset1:239
	v_mul_f16_e64 v100, v109, v131
	v_mul_f16_e64 v103, v94, v131
	;; [unrolled: 1-line block ×3, first 2 shown]
	ds_store_2addr_b32 v88, v106, v101 offset0:82 offset1:181
	v_mul_f16_e64 v101, v95, v136
	v_fma_f16 v100, v94, v111, -v100
	v_fmac_f16_e32 v103, v109, v111
	v_fma_f16 v106, v95, v113, -v107
	s_wait_loadcnt 0x6
	v_lshrrev_b32_e32 v107, 16, v116
	s_wait_dscnt 0x4
	v_lshrrev_b32_e32 v109, 16, v96
	ds_load_2addr_b32 v[94:95], v84 offset0:106 offset1:205
	v_fmac_f16_e64 v101, v133, v113
	v_lshrrev_b32_e32 v111, 16, v97
	v_mul_f16_e64 v131, v96, v107
	v_mul_f16_e32 v107, v109, v107
	s_wait_loadcnt 0x5
	v_lshrrev_b32_e32 v113, 16, v118
	s_wait_loadcnt 0x4
	v_lshrrev_b32_e32 v136, 16, v120
	s_wait_dscnt 0x3
	v_lshrrev_b32_e32 v133, 16, v98
	v_fmac_f16_e64 v131, v109, v116
	v_fma_f16 v96, v96, v116, -v107
	ds_load_b32 v116, v102 offset:6336
	v_mul_f16_e64 v137, v111, v113
	v_mul_f16_e32 v107, v97, v113
	v_mul_f16_e64 v109, v133, v136
	v_mul_f16_e64 v113, v98, v136
	v_lshrrev_b32_e32 v136, 16, v99
	s_wait_loadcnt 0x3
	v_lshrrev_b32_e32 v138, 16, v122
	v_fma_f16 v97, v97, v118, -v137
	v_fmac_f16_e32 v107, v111, v118
	s_wait_loadcnt 0x2
	v_lshrrev_b32_e32 v111, 16, v124
	s_wait_dscnt 0x1
	v_lshrrev_b32_e32 v118, 16, v94
	v_fma_f16 v98, v98, v120, -v109
	v_fmac_f16_e64 v113, v133, v120
	v_mul_f16_e64 v109, v136, v138
	v_lshrrev_b32_e32 v133, 16, v95
	s_wait_loadcnt 0x1
	v_lshrrev_b32_e32 v137, 16, v126
	v_mul_f16_e64 v120, v99, v138
	v_mul_f16_e64 v138, v94, v111
	v_mul_f16_e32 v111, v118, v111
	v_fma_f16 v99, v99, v122, -v109
	v_mul_f16_e64 v109, v133, v137
	v_pack_b32_f16 v100, v100, v103
	v_fmac_f16_e64 v138, v118, v124
	v_fma_f16 v94, v94, v124, -v111
	s_wait_dscnt 0x0
	v_lshrrev_b32_e32 v111, 16, v116
	s_wait_loadcnt 0x0
	v_lshrrev_b32_e32 v118, 16, v128
	v_fma_f16 v109, v95, v126, -v109
	v_mul_f16_e64 v95, v95, v137
	v_pack_b32_f16 v101, v106, v101
	v_fmac_f16_e64 v120, v136, v122
	v_mul_f16_e32 v103, v111, v118
	v_mul_f16_e32 v106, v116, v118
	v_fmac_f16_e64 v95, v133, v126
	v_pack_b32_f16 v96, v96, v131
	v_pack_b32_f16 v97, v97, v107
	v_fma_f16 v103, v116, v128, -v103
	v_fmac_f16_e64 v106, v111, v128
	v_pack_b32_f16 v98, v98, v113
	v_pack_b32_f16 v99, v99, v120
	;; [unrolled: 1-line block ×5, first 2 shown]
	ds_store_2addr_b32 v89, v100, v101 offset0:24 offset1:123
	ds_store_2addr_b32 v90, v96, v97 offset0:94 offset1:193
	;; [unrolled: 1-line block ×4, first 2 shown]
	ds_store_b32 v102, v103 offset:6336
	s_and_saveexec_b32 s2, vcc_lo
	s_cbranch_execz .LBB0_9
; %bb.8:
	s_wait_alu 0xfffe
	v_add_co_u32 v93, s0, s0, v93
	s_wait_alu 0xf1ff
	v_add_co_ci_u32_e64 v94, null, s1, 0, s0
	s_clause 0x10
	global_load_b32 v95, v[93:94], off offset:204
	global_load_b32 v96, v[93:94], off offset:600
	;; [unrolled: 1-line block ×17, first 2 shown]
	ds_load_2addr_b32 v[93:94], v102 offset0:51 offset1:150
	s_wait_dscnt 0x0
	v_lshrrev_b32_e32 v97, 16, v93
	v_lshrrev_b32_e32 v99, 16, v94
	s_wait_loadcnt 0x10
	v_lshrrev_b32_e32 v98, 16, v95
	s_wait_loadcnt 0xf
	v_lshrrev_b32_e32 v100, 16, v96
	s_delay_alu instid0(VALU_DEP_2) | instskip(SKIP_1) | instid1(VALU_DEP_3)
	v_mul_f16_e64 v133, v97, v98
	v_mul_f16_e32 v98, v93, v98
	v_mul_f16_e64 v136, v99, v100
	v_mul_f16_e32 v100, v94, v100
	s_wait_loadcnt 0xa
	v_lshrrev_b32_e32 v137, 16, v109
	v_fma_f16 v93, v93, v95, -v133
	v_fmac_f16_e32 v98, v97, v95
	v_fma_f16 v94, v94, v96, -v136
	v_fmac_f16_e32 v100, v99, v96
	v_lshrrev_b32_e32 v99, 16, v101
	v_lshrrev_b32_e32 v133, 16, v106
	v_pack_b32_f16 v93, v93, v98
	v_lshrrev_b32_e32 v136, 16, v107
	v_pack_b32_f16 v94, v94, v100
	v_lshrrev_b32_e32 v100, 16, v103
	s_wait_loadcnt 0x9
	v_lshrrev_b32_e32 v138, 16, v111
	s_wait_loadcnt 0x8
	;; [unrolled: 2-line block ×3, first 2 shown]
	v_lshrrev_b32_e32 v143, 16, v116
	ds_store_2addr_b32 v102, v93, v94 offset0:51 offset1:150
	ds_load_2addr_b32 v[93:94], v74 offset0:121 offset1:220
	ds_load_2addr_b32 v[95:96], v87 offset0:63 offset1:162
	;; [unrolled: 1-line block ×3, first 2 shown]
	s_wait_loadcnt 0x6
	v_lshrrev_b32_e32 v144, 16, v118
	s_wait_dscnt 0x2
	v_lshrrev_b32_e32 v145, 16, v93
	v_lshrrev_b32_e32 v146, 16, v94
	v_mul_f16_e64 v147, v93, v99
	v_mul_f16_e64 v148, v94, v100
	s_wait_dscnt 0x1
	v_lshrrev_b32_e32 v149, 16, v95
	v_mul_f16_e64 v151, v145, v99
	v_mul_f16_e64 v152, v146, v100
	ds_load_2addr_b32 v[99:100], v89 offset0:75 offset1:174
	v_mul_f16_e64 v150, v95, v133
	v_fmac_f16_e64 v147, v145, v101
	v_lshrrev_b32_e32 v145, 16, v96
	v_mul_f16_e64 v133, v149, v133
	v_fmac_f16_e64 v148, v146, v103
	v_fmac_f16_e64 v150, v149, v106
	v_fma_f16 v101, v93, v101, -v151
	v_fma_f16 v103, v94, v103, -v152
	v_mul_f16_e64 v149, v145, v136
	ds_load_2addr_b32 v[93:94], v86 offset0:17 offset1:116
	v_fma_f16 v106, v95, v106, -v133
	s_wait_dscnt 0x2
	v_lshrrev_b32_e32 v95, 16, v97
	v_mul_f16_e64 v136, v96, v136
	v_fma_f16 v133, v96, v107, -v149
	v_lshrrev_b32_e32 v149, 16, v98
	v_mul_f16_e64 v151, v97, v137
	v_mul_f16_e64 v96, v95, v137
	v_fmac_f16_e64 v136, v145, v107
	s_wait_loadcnt 0x5
	v_lshrrev_b32_e32 v146, 16, v120
	v_mul_f16_e64 v137, v149, v138
	v_fmac_f16_e64 v151, v95, v109
	v_fma_f16 v109, v97, v109, -v96
	ds_load_2addr_b32 v[95:96], v78 offset0:87 offset1:186
	s_wait_dscnt 0x2
	v_lshrrev_b32_e32 v97, 16, v99
	v_mul_f16_e64 v138, v98, v138
	v_fma_f16 v137, v98, v111, -v137
	v_mul_f16_e64 v145, v99, v141
	v_lshrrev_b32_e32 v98, 16, v100
	v_mul_f16_e64 v141, v97, v141
	v_fmac_f16_e64 v138, v149, v111
	v_mul_f16_e64 v111, v100, v143
	v_fmac_f16_e64 v145, v97, v113
	s_wait_dscnt 0x1
	v_lshrrev_b32_e32 v149, 16, v93
	v_mul_f16_e64 v97, v98, v143
	v_fma_f16 v99, v99, v113, -v141
	v_lshrrev_b32_e32 v113, 16, v94
	v_fmac_f16_e32 v111, v98, v116
	s_wait_loadcnt 0x4
	v_lshrrev_b32_e32 v107, 16, v122
	v_fma_f16 v100, v100, v116, -v97
	ds_load_2addr_b32 v[97:98], v92 offset0:29 offset1:128
	v_mul_f16_e64 v116, v149, v144
	v_mul_f16_e64 v141, v113, v146
	;; [unrolled: 1-line block ×4, first 2 shown]
	s_wait_loadcnt 0x3
	v_lshrrev_b32_e32 v144, 16, v124
	v_fma_f16 v93, v93, v118, -v116
	s_wait_dscnt 0x1
	v_lshrrev_b32_e32 v116, 16, v95
	v_fmac_f16_e64 v146, v113, v120
	ds_load_b32 v113, v102 offset:6540
	v_fmac_f16_e64 v143, v149, v118
	v_fma_f16 v94, v94, v120, -v141
	v_mul_f16_e32 v118, v95, v107
	v_lshrrev_b32_e32 v141, 16, v96
	v_mul_f16_e32 v107, v116, v107
	s_wait_loadcnt 0x2
	v_lshrrev_b32_e32 v120, 16, v126
	v_pack_b32_f16 v101, v101, v147
	v_fmac_f16_e32 v118, v116, v122
	v_mul_f16_e64 v116, v141, v144
	v_mul_f16_e64 v144, v96, v144
	v_fma_f16 v95, v95, v122, -v107
	s_wait_loadcnt 0x1
	v_lshrrev_b32_e32 v107, 16, v128
	s_wait_dscnt 0x1
	v_mul_f16_e32 v122, v97, v120
	v_fma_f16 v96, v96, v124, -v116
	v_lshrrev_b32_e32 v116, 16, v97
	v_fmac_f16_e64 v144, v141, v124
	v_lshrrev_b32_e32 v124, 16, v98
	v_mul_f16_e64 v141, v98, v107
	v_pack_b32_f16 v103, v103, v148
	v_mul_f16_e32 v120, v116, v120
	v_fmac_f16_e32 v122, v116, v126
	s_wait_loadcnt 0x0
	v_lshrrev_b32_e32 v116, 16, v131
	v_mul_f16_e32 v107, v124, v107
	v_fmac_f16_e64 v141, v124, v128
	s_wait_dscnt 0x0
	v_lshrrev_b32_e32 v124, 16, v113
	v_fma_f16 v97, v97, v126, -v120
	v_mul_f16_e64 v149, v113, v116
	v_fma_f16 v98, v98, v128, -v107
	v_pack_b32_f16 v106, v106, v150
	v_mul_f16_e32 v116, v124, v116
	v_pack_b32_f16 v109, v109, v151
	v_fmac_f16_e64 v149, v124, v131
	v_pack_b32_f16 v99, v99, v145
	v_pack_b32_f16 v100, v100, v111
	v_fma_f16 v107, v113, v131, -v116
	v_pack_b32_f16 v113, v133, v136
	v_pack_b32_f16 v116, v137, v138
	;; [unrolled: 1-line block ×9, first 2 shown]
	ds_store_2addr_b32 v74, v101, v103 offset0:121 offset1:220
	ds_store_2addr_b32 v87, v106, v113 offset0:63 offset1:162
	;; [unrolled: 1-line block ×7, first 2 shown]
	ds_store_b32 v102, v107 offset:6540
.LBB0_9:
	s_wait_alu 0xfffe
	s_or_b32 exec_lo, exec_lo, s2
	global_wb scope:SCOPE_SE
	s_wait_dscnt 0x0
	s_barrier_signal -1
	s_barrier_wait -1
	global_inv scope:SCOPE_SE
	ds_load_2addr_b32 v[86:87], v102 offset1:99
	ds_load_2addr_b32 v[100:101], v74 offset0:70 offset1:169
	ds_load_2addr_b32 v[98:99], v91 offset0:140 offset1:239
	;; [unrolled: 1-line block ×7, first 2 shown]
	ds_load_b32 v237, v102 offset:6336
	s_and_saveexec_b32 s0, vcc_lo
	s_cbranch_execz .LBB0_11
; %bb.10:
	v_add_nc_u32_e32 v69, 0x800, v102
	v_add_nc_u32_e32 v67, 0x200, v102
	;; [unrolled: 1-line block ×3, first 2 shown]
	ds_load_2addr_b32 v[74:75], v102 offset0:51 offset1:150
	ds_load_2addr_b32 v[84:85], v69 offset0:133 offset1:232
	;; [unrolled: 1-line block ×3, first 2 shown]
	v_add_nc_u32_e32 v67, 0xc00, v102
	ds_load_2addr_b32 v[76:77], v68 offset0:63 offset1:162
	v_add_nc_u32_e32 v68, 0x1000, v102
	v_add_nc_u32_e32 v69, 0x1200, v102
	ds_load_2addr_b32 v[72:73], v67 offset0:75 offset1:174
	v_add_nc_u32_e32 v67, 0x1600, v102
	s_wait_dscnt 0x4
	v_lshrrev_b32_e32 v219, 16, v74
	v_lshrrev_b32_e32 v222, 16, v75
	s_wait_dscnt 0x3
	v_mov_b32_e32 v81, v84
	ds_load_2addr_b32 v[82:83], v68 offset0:17 offset1:116
	ds_load_2addr_b32 v[79:80], v69 offset0:87 offset1:186
	;; [unrolled: 1-line block ×3, first 2 shown]
	ds_load_b32 v139, v102 offset:6540
	s_wait_dscnt 0x6
	v_lshrrev_b32_e32 v224, 16, v70
	v_lshrrev_b32_e32 v220, 16, v71
	s_wait_dscnt 0x5
	v_lshrrev_b32_e32 v21, 16, v76
	v_lshrrev_b32_e32 v19, 16, v77
	v_lshrrev_b32_e32 v221, 16, v84
	v_lshrrev_b32_e32 v20, 16, v85
	s_wait_dscnt 0x4
	v_lshrrev_b32_e32 v18, 16, v72
	v_lshrrev_b32_e32 v223, 16, v73
	s_wait_dscnt 0x3
	v_lshrrev_b32_e32 v22, 16, v82
	v_lshrrev_b32_e32 v23, 16, v83
	;; [unrolled: 3-line block ×4, first 2 shown]
	s_wait_dscnt 0x0
	v_lshrrev_b32_e32 v140, 16, v139
	v_mov_b32_e32 v67, v69
	v_mov_b32_e32 v69, v74
.LBB0_11:
	s_wait_alu 0xfffe
	s_or_b32 exec_lo, exec_lo, s0
	s_wait_dscnt 0x8
	v_pk_add_f16 v74, v86, v87
	s_wait_dscnt 0x3
	v_pk_add_f16 v238, v96, v95 neg_lo:[0,1] neg_hi:[0,1]
	v_pk_add_f16 v239, v95, v96
	v_pk_add_f16 v240, v94, v97
	s_wait_dscnt 0x0
	v_pk_add_f16 v84, v87, v237 neg_lo:[0,1] neg_hi:[0,1]
	v_pk_add_f16 v74, v74, v100
	v_pk_add_f16 v87, v237, v87
	v_pk_add_f16 v236, v99, v92 neg_lo:[0,1] neg_hi:[0,1]
	v_pk_add_f16 v78, v91, v100
	v_pk_mul_f16 v106, 0xb5c8, v84 op_sel_hi:[0,1]
	v_pk_add_f16 v103, v74, v101
	v_pk_add_f16 v74, v100, v91 neg_lo:[0,1] neg_hi:[0,1]
	v_lshrrev_b32_e32 v107, 16, v87
	v_lshrrev_b32_e32 v109, 16, v84
	v_pk_fma_f16 v241, 0x3b76, v87, v106 op_sel:[0,0,1] op_sel_hi:[0,1,0]
	v_pk_add_f16 v103, v103, v98
	v_pk_fma_f16 v242, 0x3b76, v87, v106 op_sel:[0,0,1] op_sel_hi:[0,1,0] neg_lo:[0,0,1] neg_hi:[0,0,1]
	v_mul_f16_e32 v122, 0xb8d2, v107
	v_lshrrev_b32_e32 v243, 16, v86
	v_pk_add_f16 v100, v101, v90 neg_lo:[0,1] neg_hi:[0,1]
	v_pk_add_f16 v103, v103, v99
	v_pk_add_f16 v99, v92, v99
	;; [unrolled: 1-line block ×3, first 2 shown]
	v_lshrrev_b32_e32 v111, 16, v74
	v_fma_f16 v128, 0x3a62, v84, v122
	v_pk_add_f16 v103, v103, v96
	v_pk_add_f16 v96, v97, v94 neg_lo:[0,1] neg_hi:[0,1]
	v_bfi_b32 v131, 0xffff, v241, v242
	v_mul_f16_e64 v133, 0xbbf7, v111
	v_mul_f16_e32 v106, 0x39e9, v107
	v_pk_add_f16 v97, v103, v97
	v_pk_mul_f16 v103, 0xb964, v74 op_sel_hi:[0,1]
	v_lshrrev_b32_e32 v136, 16, v78
	v_mul_f16_e32 v113, 0x3722, v107
	v_fmamk_f16 v124, v84, 0x3964, v106
	v_pk_add_f16 v97, v97, v88
	v_fmac_f16_e32 v106, 0xb964, v84
	v_mul_f16_e32 v116, 0x2de8, v107
	v_mul_f16_e32 v120, 0xb461, v107
	v_add_f16_e64 v124, v243, v124
	v_pk_add_f16 v118, v97, v89
	v_pk_fma_f16 v97, 0x39e9, v78, v103 op_sel:[0,0,1] op_sel_hi:[0,1,0]
	v_add_f16_e64 v106, v243, v106
	v_fmamk_f16 v126, v84, 0x3bf7, v116
	v_fmac_f16_e32 v116, 0xbbf7, v84
	v_pk_add_f16 v118, v118, v94
	v_pk_fma_f16 v94, 0x39e9, v78, v103 op_sel:[0,0,1] op_sel_hi:[0,1,0] neg_lo:[0,0,1] neg_hi:[0,0,1]
	v_mul_f16_e32 v103, 0xb964, v109
	v_add_f16_e64 v126, v243, v126
	v_add_f16_e64 v116, v243, v116
	v_pk_add_f16 v95, v118, v95
	v_fmamk_f16 v118, v84, 0x3b29, v113
	v_fmac_f16_e32 v113, 0xbb29, v84
	v_mul_f16_e32 v107, 0xbacd, v107
	v_pk_add_f16 v235, v98, v93 neg_lo:[0,1] neg_hi:[0,1]
	v_pk_add_f16 v92, v95, v92
	v_add_f16_e64 v118, v243, v118
	v_add_f16_e64 v113, v243, v113
	v_fmamk_f16 v95, v84, 0x3bb2, v120
	v_fmac_f16_e32 v120, 0xbbb2, v84
	v_pk_add_f16 v92, v92, v93
	v_pk_add_f16 v98, v93, v98
	v_fmamk_f16 v93, v84, 0x3836, v107
	v_add_f16_e64 v95, v243, v95
	v_add_f16_e64 v120, v243, v120
	v_pk_add_f16 v90, v92, v90
	v_add_f16_e64 v92, v243, v128
	v_pk_add_f16 v128, v86, v131
	v_fma_f16 v131, 0x39e9, v87, v103
	v_fma_f16 v103, v87, 0x39e9, -v103
	v_pk_add_f16 v90, v90, v91
	v_bfi_b32 v91, 0xffff, v97, v94
	v_add_f16_e64 v93, v243, v93
	v_fmac_f16_e32 v107, 0xb836, v84
	v_add_f16_e32 v103, v86, v103
	v_fmac_f16_e32 v122, 0xba62, v84
	v_pk_add_f16 v128, v91, v128
	v_add_f16_e64 v91, v86, v131
	v_fma_f16 v131, 0x2de8, v78, v133
	v_fma_f16 v133, v78, 0x2de8, -v133
	v_add_f16_e64 v107, v243, v107
	v_add_f16_e64 v122, v243, v122
	v_pk_add_f16 v90, v90, v237
	v_add_f16_e64 v131, v131, v91
	v_mul_f16_e64 v91, 0x2de8, v136
	v_add_f16_e64 v103, v133, v103
	v_mul_f16_e64 v133, 0xbb29, v109
	v_bfi_b32 v94, 0xffff, v94, v97
	global_wb scope:SCOPE_SE
	v_fma_f16 v137, 0x3bf7, v74, v91
	v_fmac_f16_e32 v91, 0xbbf7, v74
	s_barrier_signal -1
	s_barrier_wait -1
	global_inv scope:SCOPE_SE
	v_add_f16_e64 v124, v137, v124
	v_add_f16_e32 v106, v91, v106
	v_fma_f16 v91, 0x3722, v87, v133
	v_mul_f16_e64 v137, 0xba62, v111
	v_fma_f16 v133, v87, 0x3722, -v133
	s_delay_alu instid0(VALU_DEP_3) | instskip(NEXT) | instid1(VALU_DEP_3)
	v_add_f16_e32 v91, v86, v91
	v_fma_f16 v138, 0xb8d2, v78, v137
	s_delay_alu instid0(VALU_DEP_3) | instskip(SKIP_1) | instid1(VALU_DEP_3)
	v_add_f16_e64 v133, v86, v133
	v_fma_f16 v137, v78, 0xb8d2, -v137
	v_add_f16_e64 v138, v138, v91
	v_mul_f16_e64 v91, 0xb8d2, v136
	s_delay_alu instid0(VALU_DEP_3) | instskip(NEXT) | instid1(VALU_DEP_2)
	v_add_f16_e64 v133, v137, v133
	v_fma_f16 v141, 0x3a62, v74, v91
	v_fmac_f16_e32 v91, 0xba62, v74
	s_delay_alu instid0(VALU_DEP_2) | instskip(NEXT) | instid1(VALU_DEP_2)
	v_add_f16_e64 v118, v141, v118
	v_add_f16_e32 v113, v91, v113
	v_mul_f16_e32 v91, 0xbbf7, v109
	v_mul_f16_e64 v141, 0xb1e1, v111
	s_delay_alu instid0(VALU_DEP_2) | instskip(NEXT) | instid1(VALU_DEP_2)
	v_fma_f16 v137, 0x2de8, v87, v91
	v_fma_f16 v143, 0xbbdd, v78, v141
	v_fma_f16 v91, v87, 0x2de8, -v91
	v_fma_f16 v141, v78, 0xbbdd, -v141
	s_delay_alu instid0(VALU_DEP_4) | instskip(NEXT) | instid1(VALU_DEP_3)
	v_add_f16_e64 v137, v86, v137
	v_add_f16_e32 v91, v86, v91
	s_delay_alu instid0(VALU_DEP_2) | instskip(SKIP_1) | instid1(VALU_DEP_3)
	v_add_f16_e64 v137, v143, v137
	v_mul_f16_e64 v143, 0xbbdd, v136
	v_add_f16_e64 v141, v141, v91
	v_mul_f16_e32 v91, 0xbbb2, v109
	s_delay_alu instid0(VALU_DEP_3) | instskip(SKIP_1) | instid1(VALU_DEP_2)
	v_fma_f16 v144, 0x31e1, v74, v143
	v_fmac_f16_e64 v143, 0xb1e1, v74
	v_add_f16_e64 v126, v144, v126
	s_delay_alu instid0(VALU_DEP_2) | instskip(SKIP_3) | instid1(VALU_DEP_3)
	v_add_f16_e64 v116, v143, v116
	v_fma_f16 v143, 0xb461, v87, v91
	v_mul_f16_e64 v144, 0x3836, v111
	v_fma_f16 v91, v87, 0xb461, -v91
	v_add_f16_e64 v143, v86, v143
	s_delay_alu instid0(VALU_DEP_3) | instskip(NEXT) | instid1(VALU_DEP_3)
	v_fma_f16 v145, 0xbacd, v78, v144
	v_add_f16_e32 v91, v86, v91
	v_fma_f16 v144, v78, 0xbacd, -v144
	s_delay_alu instid0(VALU_DEP_3) | instskip(SKIP_1) | instid1(VALU_DEP_3)
	v_add_f16_e64 v143, v145, v143
	v_mul_f16_e64 v145, 0xbacd, v136
	v_add_f16_e64 v144, v144, v91
	v_mul_f16_e32 v91, 0xba62, v109
	s_delay_alu instid0(VALU_DEP_3) | instskip(SKIP_1) | instid1(VALU_DEP_2)
	v_fma_f16 v146, 0xb836, v74, v145
	v_fmac_f16_e64 v145, 0x3836, v74
	v_add_f16_e64 v95, v146, v95
	s_delay_alu instid0(VALU_DEP_2) | instskip(SKIP_3) | instid1(VALU_DEP_3)
	v_add_f16_e64 v120, v145, v120
	v_fma_f16 v145, 0xb8d2, v87, v91
	v_mul_f16_e64 v146, 0x3bb2, v111
	v_fma_f16 v91, v87, 0xb8d2, -v91
	v_add_f16_e64 v145, v86, v145
	s_delay_alu instid0(VALU_DEP_3) | instskip(NEXT) | instid1(VALU_DEP_3)
	v_fma_f16 v147, 0xb461, v78, v146
	v_add_f16_e32 v91, v86, v91
	s_delay_alu instid0(VALU_DEP_2) | instskip(SKIP_1) | instid1(VALU_DEP_1)
	v_add_f16_e64 v145, v147, v145
	v_mul_f16_e64 v147, 0xb461, v136
	v_fma_f16 v148, 0xbbb2, v74, v147
	v_fmac_f16_e64 v147, 0x3bb2, v74
	s_delay_alu instid0(VALU_DEP_2) | instskip(SKIP_1) | instid1(VALU_DEP_3)
	v_add_f16_e64 v148, v148, v92
	v_fma_f16 v92, v78, 0xb461, -v146
	v_add_f16_e64 v122, v147, v122
	s_delay_alu instid0(VALU_DEP_2) | instskip(SKIP_2) | instid1(VALU_DEP_2)
	v_add_f16_e64 v146, v92, v91
	v_mul_f16_e32 v91, 0xb836, v109
	v_mul_f16_e32 v92, 0x3b29, v111
	v_fmamk_f16 v109, v87, 0xbacd, v91
	s_delay_alu instid0(VALU_DEP_2)
	v_fmamk_f16 v111, v78, 0x3722, v92
	v_fma_f16 v91, v87, 0xbacd, -v91
	v_fma_f16 v92, v78, 0x3722, -v92
	v_pk_mul_f16 v87, 0xbbdd, v87 op_sel_hi:[0,1]
	v_add_f16_e32 v109, v86, v109
	v_pk_mul_f16 v78, 0x3b76, v78 op_sel_hi:[0,1]
	v_add_f16_e32 v91, v86, v91
	s_delay_alu instid0(VALU_DEP_3) | instskip(SKIP_1) | instid1(VALU_DEP_1)
	v_add_f16_e32 v109, v111, v109
	v_mul_f16_e64 v111, 0x3722, v136
	v_fma_f16 v136, 0xbb29, v74, v111
	v_fmac_f16_e32 v111, 0x3b29, v74
	s_delay_alu instid0(VALU_DEP_2) | instskip(SKIP_2) | instid1(VALU_DEP_4)
	v_add_f16_e64 v93, v136, v93
	v_add_f16_e64 v136, v92, v91
	v_pk_mul_f16 v92, 0xbb29, v100 op_sel_hi:[0,1]
	v_add_f16_e32 v107, v111, v107
	s_delay_alu instid0(VALU_DEP_2) | instskip(SKIP_1) | instid1(VALU_DEP_1)
	v_pk_fma_f16 v91, 0x3722, v101, v92 op_sel:[0,0,1] op_sel_hi:[0,1,0]
	v_pk_fma_f16 v92, 0x3722, v101, v92 op_sel:[0,0,1] op_sel_hi:[0,1,0] neg_lo:[0,0,1] neg_hi:[0,0,1]
	v_bfi_b32 v111, 0xffff, v91, v92
	v_bfi_b32 v91, 0xffff, v92, v91
	s_delay_alu instid0(VALU_DEP_2) | instskip(SKIP_1) | instid1(VALU_DEP_1)
	v_pk_add_f16 v111, v111, v128
	v_lshrrev_b32_e32 v128, 16, v100
	v_mul_f16_e64 v147, 0xba62, v128
	s_delay_alu instid0(VALU_DEP_1) | instskip(SKIP_1) | instid1(VALU_DEP_2)
	v_fma_f16 v149, 0xb8d2, v101, v147
	v_fma_f16 v147, v101, 0xb8d2, -v147
	v_add_f16_e64 v131, v149, v131
	v_lshrrev_b32_e32 v149, 16, v101
	s_delay_alu instid0(VALU_DEP_3) | instskip(SKIP_1) | instid1(VALU_DEP_3)
	v_add_f16_e64 v103, v147, v103
	v_mul_f16_e64 v147, 0x31e1, v128
	v_mul_f16_e64 v150, 0xb8d2, v149
	s_delay_alu instid0(VALU_DEP_1) | instskip(SKIP_1) | instid1(VALU_DEP_2)
	v_fma_f16 v151, 0x3a62, v100, v150
	v_fmac_f16_e64 v150, 0xba62, v100
	v_add_f16_e64 v124, v151, v124
	s_delay_alu instid0(VALU_DEP_2) | instskip(SKIP_2) | instid1(VALU_DEP_2)
	v_add_f16_e64 v106, v150, v106
	v_fma_f16 v150, 0xbbdd, v101, v147
	v_fma_f16 v147, v101, 0xbbdd, -v147
	v_add_f16_e64 v138, v150, v138
	v_mul_f16_e64 v150, 0xbbdd, v149
	s_delay_alu instid0(VALU_DEP_3) | instskip(SKIP_1) | instid1(VALU_DEP_3)
	v_add_f16_e64 v133, v147, v133
	v_mul_f16_e64 v147, 0x3bb2, v128
	v_fma_f16 v151, 0xb1e1, v100, v150
	v_fmac_f16_e64 v150, 0x31e1, v100
	s_delay_alu instid0(VALU_DEP_2) | instskip(NEXT) | instid1(VALU_DEP_2)
	v_add_f16_e64 v118, v151, v118
	v_add_f16_e64 v113, v150, v113
	v_fma_f16 v150, 0xb461, v101, v147
	v_fma_f16 v147, v101, 0xb461, -v147
	s_delay_alu instid0(VALU_DEP_2) | instskip(SKIP_1) | instid1(VALU_DEP_3)
	v_add_f16_e64 v137, v150, v137
	v_mul_f16_e64 v150, 0xb461, v149
	v_add_f16_e64 v141, v147, v141
	v_mul_f16_e64 v147, 0x3964, v128
	s_delay_alu instid0(VALU_DEP_3) | instskip(SKIP_1) | instid1(VALU_DEP_2)
	v_fma_f16 v151, 0xbbb2, v100, v150
	v_fmac_f16_e64 v150, 0x3bb2, v100
	v_add_f16_e64 v126, v151, v126
	s_delay_alu instid0(VALU_DEP_2) | instskip(SKIP_1) | instid1(VALU_DEP_1)
	v_add_f16_e64 v116, v150, v116
	v_fma_f16 v150, 0x39e9, v101, v147
	v_add_f16_e64 v143, v150, v143
	v_mul_f16_e64 v150, 0x39e9, v149
	s_delay_alu instid0(VALU_DEP_1) | instskip(SKIP_1) | instid1(VALU_DEP_2)
	v_fma_f16 v151, 0xb964, v100, v150
	v_fmac_f16_e64 v150, 0x3964, v100
	v_add_f16_e64 v151, v151, v95
	v_fma_f16 v95, v101, 0x39e9, -v147
	s_delay_alu instid0(VALU_DEP_3) | instskip(NEXT) | instid1(VALU_DEP_2)
	v_add_f16_e64 v120, v150, v120
	v_add_f16_e64 v144, v95, v144
	v_mul_f16_e64 v95, 0xb5c8, v128
	s_delay_alu instid0(VALU_DEP_1) | instskip(SKIP_1) | instid1(VALU_DEP_2)
	v_fma_f16 v147, 0x3b76, v101, v95
	v_fma_f16 v95, v101, 0x3b76, -v95
	v_add_f16_e64 v145, v147, v145
	s_delay_alu instid0(VALU_DEP_2) | instskip(SKIP_2) | instid1(VALU_DEP_2)
	v_add_f16_e64 v146, v95, v146
	v_mul_f16_e64 v95, 0xbbf7, v128
	v_mul_f16_e64 v147, 0x3b76, v149
	v_fma_f16 v128, 0x2de8, v101, v95
	s_delay_alu instid0(VALU_DEP_2) | instskip(SKIP_1) | instid1(VALU_DEP_3)
	v_fma_f16 v150, 0x35c8, v100, v147
	v_fmac_f16_e64 v147, 0xb5c8, v100
	v_add_f16_e64 v109, v128, v109
	v_mul_f16_e64 v128, 0x2de8, v149
	s_delay_alu instid0(VALU_DEP_3) | instskip(SKIP_1) | instid1(VALU_DEP_3)
	v_add_f16_e64 v122, v147, v122
	v_add_f16_e64 v148, v150, v148
	v_fma_f16 v147, 0x3bf7, v100, v128
	v_fmac_f16_e64 v128, 0xbbf7, v100
	s_delay_alu instid0(VALU_DEP_2) | instskip(SKIP_2) | instid1(VALU_DEP_4)
	v_add_f16_e64 v147, v147, v93
	v_fma_f16 v93, v101, 0x2de8, -v95
	v_pk_mul_f16 v95, 0xbbf7, v235 op_sel_hi:[0,1]
	v_add_f16_e64 v107, v128, v107
	s_delay_alu instid0(VALU_DEP_3) | instskip(NEXT) | instid1(VALU_DEP_3)
	v_add_f16_e64 v136, v93, v136
	v_pk_fma_f16 v93, 0x2de8, v98, v95 op_sel:[0,0,1] op_sel_hi:[0,1,0]
	v_pk_fma_f16 v95, 0x2de8, v98, v95 op_sel:[0,0,1] op_sel_hi:[0,1,0] neg_lo:[0,0,1] neg_hi:[0,0,1]
	s_delay_alu instid0(VALU_DEP_1) | instskip(NEXT) | instid1(VALU_DEP_1)
	v_bfi_b32 v128, 0xffff, v93, v95
	v_pk_add_f16 v111, v128, v111
	v_lshrrev_b32_e32 v128, 16, v235
	s_delay_alu instid0(VALU_DEP_1) | instskip(NEXT) | instid1(VALU_DEP_1)
	v_mul_f16_e64 v149, 0xb1e1, v128
	v_fma_f16 v150, 0xbbdd, v98, v149
	v_fma_f16 v149, v98, 0xbbdd, -v149
	s_delay_alu instid0(VALU_DEP_2) | instskip(SKIP_1) | instid1(VALU_DEP_3)
	v_add_f16_e64 v131, v150, v131
	v_lshrrev_b32_e32 v150, 16, v98
	v_add_f16_e64 v103, v149, v103
	v_mul_f16_e64 v149, 0x3bb2, v128
	s_delay_alu instid0(VALU_DEP_3) | instskip(NEXT) | instid1(VALU_DEP_1)
	v_mul_f16_e64 v152, 0xbbdd, v150
	v_fma_f16 v153, 0x31e1, v235, v152
	v_fmac_f16_e64 v152, 0xb1e1, v235
	s_delay_alu instid0(VALU_DEP_2) | instskip(NEXT) | instid1(VALU_DEP_2)
	v_add_f16_e64 v124, v153, v124
	v_add_f16_e64 v106, v152, v106
	v_fma_f16 v152, 0xb461, v98, v149
	v_fma_f16 v149, v98, 0xb461, -v149
	s_delay_alu instid0(VALU_DEP_2) | instskip(SKIP_1) | instid1(VALU_DEP_3)
	v_add_f16_e64 v138, v152, v138
	v_mul_f16_e64 v152, 0xb461, v150
	v_add_f16_e64 v133, v149, v133
	v_mul_f16_e64 v149, 0x35c8, v128
	s_delay_alu instid0(VALU_DEP_3) | instskip(SKIP_1) | instid1(VALU_DEP_2)
	v_fma_f16 v153, 0xbbb2, v235, v152
	v_fmac_f16_e64 v152, 0x3bb2, v235
	v_add_f16_e64 v118, v153, v118
	s_delay_alu instid0(VALU_DEP_2) | instskip(SKIP_2) | instid1(VALU_DEP_2)
	v_add_f16_e64 v113, v152, v113
	v_fma_f16 v152, 0x3b76, v98, v149
	v_fma_f16 v149, v98, 0x3b76, -v149
	v_add_f16_e64 v137, v152, v137
	v_mul_f16_e64 v152, 0x3b76, v150
	s_delay_alu instid0(VALU_DEP_3) | instskip(SKIP_1) | instid1(VALU_DEP_3)
	v_add_f16_e64 v141, v149, v141
	v_mul_f16_e64 v149, 0xbb29, v128
	v_fma_f16 v153, 0xb5c8, v235, v152
	v_fmac_f16_e64 v152, 0x35c8, v235
	s_delay_alu instid0(VALU_DEP_2) | instskip(NEXT) | instid1(VALU_DEP_2)
	v_add_f16_e64 v126, v153, v126
	v_add_f16_e64 v116, v152, v116
	v_fma_f16 v152, 0x3722, v98, v149
	v_fma_f16 v149, v98, 0x3722, -v149
	s_delay_alu instid0(VALU_DEP_2) | instskip(SKIP_1) | instid1(VALU_DEP_3)
	v_add_f16_e64 v143, v152, v143
	v_mul_f16_e64 v152, 0x3722, v150
	v_add_f16_e64 v144, v149, v144
	v_mul_f16_e64 v149, 0xb836, v128
	v_mul_f16_e64 v128, 0x3a62, v128
	s_delay_alu instid0(VALU_DEP_4) | instskip(SKIP_1) | instid1(VALU_DEP_2)
	v_fma_f16 v153, 0x3b29, v235, v152
	v_fmac_f16_e64 v152, 0xbb29, v235
	v_add_f16_e64 v151, v153, v151
	s_delay_alu instid0(VALU_DEP_2) | instskip(SKIP_2) | instid1(VALU_DEP_2)
	v_add_f16_e64 v120, v152, v120
	v_fma_f16 v152, 0xbacd, v98, v149
	v_fma_f16 v149, v98, 0xbacd, -v149
	v_add_f16_e64 v145, v152, v145
	s_delay_alu instid0(VALU_DEP_2) | instskip(SKIP_3) | instid1(VALU_DEP_3)
	v_add_f16_e64 v146, v149, v146
	v_fma_f16 v149, 0xb8d2, v98, v128
	v_fma_f16 v128, v98, 0xb8d2, -v128
	v_mul_f16_e64 v152, 0xbacd, v150
	v_add_f16_e64 v109, v149, v109
	s_delay_alu instid0(VALU_DEP_3) | instskip(SKIP_4) | instid1(VALU_DEP_4)
	v_add_f16_e64 v128, v128, v136
	v_pk_mul_f16 v136, 0xbbb2, v236 op_sel_hi:[0,1]
	v_mul_f16_e64 v149, 0xb8d2, v150
	v_fma_f16 v153, 0x3836, v235, v152
	v_fmac_f16_e64 v152, 0xb836, v235
	v_pk_fma_f16 v237, 0xb461, v99, v136 op_sel:[0,0,1] op_sel_hi:[0,1,0]
	v_pk_fma_f16 v243, 0xb461, v99, v136 op_sel:[0,0,1] op_sel_hi:[0,1,0] neg_lo:[0,0,1] neg_hi:[0,0,1]
	v_fma_f16 v150, 0xba62, v235, v149
	v_fmac_f16_e64 v149, 0x3a62, v235
	v_add_f16_e64 v122, v152, v122
	v_add_f16_e64 v148, v153, v148
	v_bfi_b32 v136, 0xffff, v237, v243
	v_add_f16_e64 v147, v150, v147
	v_add_f16_e64 v107, v149, v107
	s_delay_alu instid0(VALU_DEP_3) | instskip(SKIP_1) | instid1(VALU_DEP_1)
	v_pk_add_f16 v111, v136, v111
	v_lshrrev_b32_e32 v136, 16, v236
	v_mul_f16_e64 v149, 0x3836, v136
	s_delay_alu instid0(VALU_DEP_1) | instskip(SKIP_1) | instid1(VALU_DEP_2)
	v_fma_f16 v150, 0xbacd, v99, v149
	v_fma_f16 v149, v99, 0xbacd, -v149
	v_add_f16_e64 v131, v150, v131
	v_lshrrev_b32_e32 v150, 16, v99
	s_delay_alu instid0(VALU_DEP_3) | instskip(SKIP_1) | instid1(VALU_DEP_3)
	v_add_f16_e64 v103, v149, v103
	v_mul_f16_e64 v149, 0x3964, v136
	v_mul_f16_e64 v152, 0xbacd, v150
	s_delay_alu instid0(VALU_DEP_1) | instskip(SKIP_1) | instid1(VALU_DEP_2)
	v_fma_f16 v153, 0xb836, v236, v152
	v_fmac_f16_e64 v152, 0x3836, v236
	v_add_f16_e64 v124, v153, v124
	s_delay_alu instid0(VALU_DEP_2) | instskip(SKIP_2) | instid1(VALU_DEP_2)
	v_add_f16_e64 v106, v152, v106
	v_fma_f16 v152, 0x39e9, v99, v149
	v_fma_f16 v149, v99, 0x39e9, -v149
	v_add_f16_e64 v138, v152, v138
	v_mul_f16_e64 v152, 0x39e9, v150
	s_delay_alu instid0(VALU_DEP_3) | instskip(SKIP_1) | instid1(VALU_DEP_3)
	v_add_f16_e64 v133, v149, v133
	v_mul_f16_e64 v149, 0xbb29, v136
	v_fma_f16 v153, 0xb964, v236, v152
	v_fmac_f16_e64 v152, 0x3964, v236
	s_delay_alu instid0(VALU_DEP_2) | instskip(NEXT) | instid1(VALU_DEP_2)
	v_add_f16_e64 v118, v153, v118
	v_add_f16_e64 v113, v152, v113
	v_fma_f16 v152, 0x3722, v99, v149
	v_fma_f16 v149, v99, 0x3722, -v149
	s_delay_alu instid0(VALU_DEP_2) | instskip(SKIP_1) | instid1(VALU_DEP_3)
	v_add_f16_e64 v137, v152, v137
	v_mul_f16_e64 v152, 0x3722, v150
	v_add_f16_e64 v141, v149, v141
	v_mul_f16_e64 v149, 0xb1e1, v136
	s_delay_alu instid0(VALU_DEP_3) | instskip(SKIP_1) | instid1(VALU_DEP_2)
	v_fma_f16 v153, 0x3b29, v236, v152
	v_fmac_f16_e64 v152, 0xbb29, v236
	v_add_f16_e64 v126, v153, v126
	s_delay_alu instid0(VALU_DEP_2) | instskip(SKIP_2) | instid1(VALU_DEP_2)
	v_add_f16_e64 v116, v152, v116
	v_fma_f16 v152, 0xbbdd, v99, v149
	v_fma_f16 v149, v99, 0xbbdd, -v149
	v_add_f16_e64 v143, v152, v143
	v_mul_f16_e64 v152, 0xbbdd, v150
	s_delay_alu instid0(VALU_DEP_3) | instskip(SKIP_2) | instid1(VALU_DEP_4)
	v_add_f16_e64 v144, v149, v144
	v_mul_f16_e64 v149, 0x3bf7, v136
	v_mul_f16_e64 v136, 0xb5c8, v136
	v_fma_f16 v153, 0x31e1, v236, v152
	v_fmac_f16_e64 v152, 0xb1e1, v236
	s_delay_alu instid0(VALU_DEP_2) | instskip(NEXT) | instid1(VALU_DEP_2)
	v_add_f16_e64 v151, v153, v151
	v_add_f16_e64 v120, v152, v120
	v_fma_f16 v152, 0x2de8, v99, v149
	v_fma_f16 v149, v99, 0x2de8, -v149
	s_delay_alu instid0(VALU_DEP_2) | instskip(NEXT) | instid1(VALU_DEP_2)
	v_add_f16_e64 v145, v152, v145
	v_add_f16_e64 v146, v149, v146
	v_fma_f16 v149, 0x3b76, v99, v136
	v_fma_f16 v136, v99, 0x3b76, -v136
	v_mul_f16_e64 v152, 0x2de8, v150
	s_delay_alu instid0(VALU_DEP_3) | instskip(NEXT) | instid1(VALU_DEP_3)
	v_add_f16_e64 v109, v149, v109
	v_add_f16_e64 v128, v136, v128
	v_pk_mul_f16 v136, 0xba62, v238 op_sel_hi:[0,1]
	v_mul_f16_e64 v149, 0x3b76, v150
	v_fma_f16 v153, 0xbbf7, v236, v152
	v_fmac_f16_e64 v152, 0x3bf7, v236
	s_delay_alu instid0(VALU_DEP_4)
	v_pk_fma_f16 v244, 0xb8d2, v239, v136 op_sel:[0,0,1] op_sel_hi:[0,1,0]
	v_pk_fma_f16 v245, 0xb8d2, v239, v136 op_sel:[0,0,1] op_sel_hi:[0,1,0] neg_lo:[0,0,1] neg_hi:[0,0,1]
	v_fma_f16 v150, 0x35c8, v236, v149
	v_fmac_f16_e64 v149, 0xb5c8, v236
	v_add_f16_e64 v122, v152, v122
	v_add_f16_e64 v148, v153, v148
	v_bfi_b32 v136, 0xffff, v244, v245
	v_add_f16_e64 v147, v150, v147
	v_add_f16_e64 v107, v149, v107
	s_delay_alu instid0(VALU_DEP_3) | instskip(SKIP_1) | instid1(VALU_DEP_1)
	v_pk_add_f16 v111, v136, v111
	v_lshrrev_b32_e32 v136, 16, v238
	v_mul_f16_e64 v149, 0x3bb2, v136
	s_delay_alu instid0(VALU_DEP_1) | instskip(SKIP_1) | instid1(VALU_DEP_2)
	v_fma_f16 v150, 0xb461, v239, v149
	v_fma_f16 v149, v239, 0xb461, -v149
	v_add_f16_e64 v131, v150, v131
	v_lshrrev_b32_e32 v150, 16, v239
	s_delay_alu instid0(VALU_DEP_3) | instskip(SKIP_1) | instid1(VALU_DEP_3)
	v_add_f16_e64 v103, v149, v103
	v_mul_f16_e64 v149, 0xb5c8, v136
	v_mul_f16_e64 v152, 0xb461, v150
	s_delay_alu instid0(VALU_DEP_1) | instskip(SKIP_1) | instid1(VALU_DEP_2)
	v_fma_f16 v153, 0xbbb2, v238, v152
	v_fmac_f16_e64 v152, 0x3bb2, v238
	v_add_f16_e64 v124, v153, v124
	s_delay_alu instid0(VALU_DEP_2) | instskip(SKIP_2) | instid1(VALU_DEP_2)
	v_add_f16_e64 v106, v152, v106
	v_fma_f16 v152, 0x3b76, v239, v149
	v_fma_f16 v149, v239, 0x3b76, -v149
	v_add_f16_e64 v138, v152, v138
	v_mul_f16_e64 v152, 0x3b76, v150
	s_delay_alu instid0(VALU_DEP_3) | instskip(SKIP_1) | instid1(VALU_DEP_3)
	v_add_f16_e64 v133, v149, v133
	v_mul_f16_e64 v149, 0xb836, v136
	v_fma_f16 v153, 0x35c8, v238, v152
	v_fmac_f16_e64 v152, 0xb5c8, v238
	s_delay_alu instid0(VALU_DEP_2) | instskip(NEXT) | instid1(VALU_DEP_2)
	v_add_f16_e64 v118, v153, v118
	v_add_f16_e64 v113, v152, v113
	v_fma_f16 v152, 0xbacd, v239, v149
	v_fma_f16 v149, v239, 0xbacd, -v149
	s_delay_alu instid0(VALU_DEP_2) | instskip(SKIP_1) | instid1(VALU_DEP_3)
	v_add_f16_e64 v137, v152, v137
	v_mul_f16_e64 v152, 0xbacd, v150
	v_add_f16_e64 v141, v149, v141
	v_mul_f16_e64 v149, 0x3bf7, v136
	s_delay_alu instid0(VALU_DEP_3) | instskip(SKIP_1) | instid1(VALU_DEP_2)
	v_fma_f16 v153, 0x3836, v238, v152
	v_fmac_f16_e64 v152, 0xb836, v238
	v_add_f16_e64 v126, v153, v126
	s_delay_alu instid0(VALU_DEP_2) | instskip(SKIP_2) | instid1(VALU_DEP_2)
	v_add_f16_e64 v116, v152, v116
	v_fma_f16 v152, 0x2de8, v239, v149
	v_fma_f16 v149, v239, 0x2de8, -v149
	v_add_f16_e64 v143, v152, v143
	v_mul_f16_e64 v152, 0x2de8, v150
	s_delay_alu instid0(VALU_DEP_3) | instskip(SKIP_2) | instid1(VALU_DEP_4)
	v_add_f16_e64 v144, v149, v144
	v_mul_f16_e64 v149, 0xb964, v136
	v_mul_f16_e64 v136, 0xb1e1, v136
	v_fma_f16 v153, 0xbbf7, v238, v152
	v_fmac_f16_e64 v152, 0x3bf7, v238
	s_delay_alu instid0(VALU_DEP_2) | instskip(NEXT) | instid1(VALU_DEP_2)
	v_add_f16_e64 v151, v153, v151
	v_add_f16_e64 v120, v152, v120
	v_fma_f16 v152, 0x39e9, v239, v149
	v_fma_f16 v149, v239, 0x39e9, -v149
	s_delay_alu instid0(VALU_DEP_2) | instskip(NEXT) | instid1(VALU_DEP_2)
	v_add_f16_e64 v145, v152, v145
	v_add_f16_e64 v146, v149, v146
	v_fma_f16 v149, 0xbbdd, v239, v136
	v_fma_f16 v136, v239, 0xbbdd, -v136
	v_mul_f16_e64 v152, 0x39e9, v150
	s_delay_alu instid0(VALU_DEP_3) | instskip(SKIP_1) | instid1(VALU_DEP_4)
	v_add_f16_e64 v109, v149, v109
	v_mul_f16_e64 v149, 0xbbdd, v150
	v_add_f16_e64 v128, v136, v128
	v_pk_mul_f16 v136, 0xb836, v96 op_sel_hi:[0,1]
	v_fma_f16 v153, 0x3964, v238, v152
	v_fmac_f16_e64 v152, 0xb964, v238
	v_fma_f16 v150, 0x31e1, v238, v149
	v_fmac_f16_e64 v149, 0xb1e1, v238
	s_delay_alu instid0(VALU_DEP_4) | instskip(NEXT) | instid1(VALU_DEP_4)
	v_add_f16_e64 v148, v153, v148
	v_add_f16_e64 v122, v152, v122
	s_delay_alu instid0(VALU_DEP_4) | instskip(NEXT) | instid1(VALU_DEP_4)
	v_add_f16_e64 v147, v150, v147
	v_add_f16_e64 v107, v149, v107
	v_pk_fma_f16 v149, 0xbacd, v240, v136 op_sel:[0,0,1] op_sel_hi:[0,1,0]
	v_pk_fma_f16 v136, 0xbacd, v240, v136 op_sel:[0,0,1] op_sel_hi:[0,1,0] neg_lo:[0,0,1] neg_hi:[0,0,1]
	s_delay_alu instid0(VALU_DEP_1) | instskip(NEXT) | instid1(VALU_DEP_1)
	v_bfi_b32 v150, 0xffff, v149, v136
	v_pk_add_f16 v111, v150, v111
	v_lshrrev_b32_e32 v150, 16, v96
	s_delay_alu instid0(VALU_DEP_1) | instskip(NEXT) | instid1(VALU_DEP_1)
	v_mul_f16_e64 v152, 0x3b29, v150
	v_fma_f16 v153, 0x3722, v240, v152
	v_fma_f16 v152, v240, 0x3722, -v152
	s_delay_alu instid0(VALU_DEP_2) | instskip(SKIP_1) | instid1(VALU_DEP_3)
	v_add_f16_e64 v131, v153, v131
	v_lshrrev_b32_e32 v153, 16, v240
	v_add_f16_e64 v103, v152, v103
	v_mul_f16_e64 v152, 0xbbf7, v150
	s_delay_alu instid0(VALU_DEP_3) | instskip(NEXT) | instid1(VALU_DEP_1)
	v_mul_f16_e64 v246, 0x3722, v153
	v_fma_f16 v247, 0xbb29, v96, v246
	v_fmac_f16_e64 v246, 0x3b29, v96
	s_delay_alu instid0(VALU_DEP_2) | instskip(NEXT) | instid1(VALU_DEP_2)
	v_add_f16_e64 v124, v247, v124
	v_add_f16_e64 v106, v246, v106
	v_fma_f16 v246, 0x2de8, v240, v152
	v_fma_f16 v152, v240, 0x2de8, -v152
	s_delay_alu instid0(VALU_DEP_2) | instskip(SKIP_1) | instid1(VALU_DEP_3)
	v_add_f16_e64 v138, v246, v138
	v_mul_f16_e64 v246, 0x2de8, v153
	v_add_f16_e64 v133, v152, v133
	v_mul_f16_e64 v152, 0x3a62, v150
	s_delay_alu instid0(VALU_DEP_3) | instskip(SKIP_1) | instid1(VALU_DEP_2)
	v_fma_f16 v247, 0x3bf7, v96, v246
	v_fmac_f16_e64 v246, 0xbbf7, v96
	v_add_f16_e64 v118, v247, v118
	s_delay_alu instid0(VALU_DEP_2) | instskip(SKIP_2) | instid1(VALU_DEP_2)
	v_add_f16_e64 v113, v246, v113
	v_fma_f16 v246, 0xb8d2, v240, v152
	v_fma_f16 v152, v240, 0xb8d2, -v152
	v_add_f16_e64 v137, v246, v137
	v_mul_f16_e64 v246, 0xb8d2, v153
	s_delay_alu instid0(VALU_DEP_3) | instskip(SKIP_1) | instid1(VALU_DEP_3)
	v_add_f16_e64 v141, v152, v141
	v_mul_f16_e64 v152, 0xb5c8, v150
	v_fma_f16 v247, 0xba62, v96, v246
	v_fmac_f16_e64 v246, 0x3a62, v96
	s_delay_alu instid0(VALU_DEP_2) | instskip(NEXT) | instid1(VALU_DEP_2)
	v_add_f16_e64 v126, v247, v126
	v_add_f16_e64 v116, v246, v116
	v_fma_f16 v246, 0x3b76, v240, v152
	v_fma_f16 v152, v240, 0x3b76, -v152
	s_delay_alu instid0(VALU_DEP_2) | instskip(SKIP_1) | instid1(VALU_DEP_3)
	v_add_f16_e64 v143, v246, v143
	v_mul_f16_e64 v246, 0x3b76, v153
	v_add_f16_e64 v144, v152, v144
	v_mul_f16_e64 v152, 0xb1e1, v150
	s_delay_alu instid0(VALU_DEP_3) | instskip(SKIP_1) | instid1(VALU_DEP_2)
	v_fma_f16 v247, 0x35c8, v96, v246
	v_fmac_f16_e64 v246, 0xb5c8, v96
	v_add_f16_e64 v151, v247, v151
	s_delay_alu instid0(VALU_DEP_2) | instskip(SKIP_2) | instid1(VALU_DEP_2)
	v_add_f16_e64 v120, v246, v120
	v_fma_f16 v246, 0xbbdd, v240, v152
	v_fma_f16 v152, v240, 0xbbdd, -v152
	v_add_f16_e64 v145, v246, v145
	v_mul_f16_e64 v246, 0xbbdd, v153
	s_delay_alu instid0(VALU_DEP_3) | instskip(SKIP_2) | instid1(VALU_DEP_4)
	v_add_f16_e64 v146, v152, v146
	v_pk_add_f16 v152, v88, v89 neg_lo:[0,1] neg_hi:[0,1]
	v_pk_add_f16 v88, v89, v88
	v_fma_f16 v247, 0x31e1, v96, v246
	v_fmac_f16_e64 v246, 0xb1e1, v96
	s_delay_alu instid0(VALU_DEP_2) | instskip(NEXT) | instid1(VALU_DEP_2)
	v_add_f16_e64 v148, v247, v148
	v_add_f16_e64 v89, v246, v122
	v_mul_f16_e64 v122, 0x3964, v150
	s_delay_alu instid0(VALU_DEP_1) | instskip(SKIP_1) | instid1(VALU_DEP_2)
	v_fma_f16 v150, 0x39e9, v240, v122
	v_fma_f16 v122, v240, 0x39e9, -v122
	v_add_f16_e64 v109, v150, v109
	v_mul_f16_e64 v150, 0x39e9, v153
	s_delay_alu instid0(VALU_DEP_3) | instskip(SKIP_1) | instid1(VALU_DEP_3)
	v_add_f16_e64 v122, v122, v128
	v_pk_mul_f16 v128, 0xb1e1, v152 op_sel_hi:[0,1]
	v_fma_f16 v153, 0xb964, v96, v150
	v_fmac_f16_e64 v150, 0x3964, v96
	s_delay_alu instid0(VALU_DEP_2) | instskip(NEXT) | instid1(VALU_DEP_2)
	v_add_f16_e64 v147, v153, v147
	v_add_f16_e64 v107, v150, v107
	v_pk_fma_f16 v150, 0xbbdd, v88, v128 op_sel:[0,0,1] op_sel_hi:[0,1,0]
	v_pk_fma_f16 v128, 0xbbdd, v88, v128 op_sel:[0,0,1] op_sel_hi:[0,1,0] neg_lo:[0,0,1] neg_hi:[0,0,1]
	s_delay_alu instid0(VALU_DEP_1) | instskip(NEXT) | instid1(VALU_DEP_1)
	v_bfi_b32 v153, 0xffff, v150, v128
	v_pk_add_f16 v111, v153, v111
	v_lshrrev_b32_e32 v153, 16, v152
	s_delay_alu instid0(VALU_DEP_1) | instskip(NEXT) | instid1(VALU_DEP_1)
	v_mul_f16_e64 v246, 0x35c8, v153
	v_fma_f16 v247, 0x3b76, v88, v246
	v_fma_f16 v246, v88, 0x3b76, -v246
	s_delay_alu instid0(VALU_DEP_2) | instskip(SKIP_1) | instid1(VALU_DEP_3)
	v_add_f16_e64 v131, v247, v131
	v_lshrrev_b32_e32 v247, 16, v88
	v_add_f16_e64 v103, v246, v103
	v_mul_f16_e64 v246, 0xb836, v153
	s_delay_alu instid0(VALU_DEP_3) | instskip(NEXT) | instid1(VALU_DEP_1)
	v_mul_f16_e64 v248, 0x3b76, v247
	v_fma_f16 v249, 0xb5c8, v152, v248
	v_fmac_f16_e64 v248, 0x35c8, v152
	s_delay_alu instid0(VALU_DEP_2) | instskip(NEXT) | instid1(VALU_DEP_2)
	v_add_f16_e64 v124, v249, v124
	v_add_f16_e64 v106, v248, v106
	v_fma_f16 v248, 0xbacd, v88, v246
	v_fma_f16 v246, v88, 0xbacd, -v246
	s_delay_alu instid0(VALU_DEP_4) | instskip(NEXT) | instid1(VALU_DEP_3)
	v_pack_b32_f16 v124, v131, v124
	v_add_f16_e64 v138, v248, v138
	v_mul_f16_e64 v248, 0xbacd, v247
	s_delay_alu instid0(VALU_DEP_4) | instskip(SKIP_1) | instid1(VALU_DEP_3)
	v_add_f16_e64 v133, v246, v133
	v_mul_f16_e64 v246, 0x3964, v153
	v_fma_f16 v249, 0x3836, v152, v248
	v_fmac_f16_e64 v248, 0xb836, v152
	s_delay_alu instid0(VALU_DEP_2) | instskip(NEXT) | instid1(VALU_DEP_2)
	v_add_f16_e64 v118, v249, v118
	v_add_f16_e64 v113, v248, v113
	v_fma_f16 v248, 0x39e9, v88, v246
	v_fma_f16 v246, v88, 0x39e9, -v246
	s_delay_alu instid0(VALU_DEP_4) | instskip(SKIP_1) | instid1(VALU_DEP_4)
	v_pack_b32_f16 v118, v138, v118
	v_pk_fma_f16 v138, 0xb1e1, v84, v87 op_sel:[0,0,1] op_sel_hi:[0,1,0]
	v_add_f16_e64 v137, v248, v137
	v_mul_f16_e64 v248, 0x39e9, v247
	v_add_f16_e64 v141, v246, v141
	v_mul_f16_e64 v246, 0xba62, v153
	v_pk_fma_f16 v84, 0xb1e1, v84, v87 op_sel:[0,0,1] op_sel_hi:[0,1,0] neg_lo:[0,1,0] neg_hi:[0,1,0]
	v_bfi_b32 v87, 0xffff, v242, v241
	v_fma_f16 v249, 0xb964, v152, v248
	v_fmac_f16_e64 v248, 0x3964, v152
	s_delay_alu instid0(VALU_DEP_4) | instskip(NEXT) | instid1(VALU_DEP_4)
	v_pk_add_f16 v84, v86, v84 op_sel:[1,0] op_sel_hi:[0,1]
	v_pk_add_f16 v87, v86, v87
	s_delay_alu instid0(VALU_DEP_4) | instskip(NEXT) | instid1(VALU_DEP_4)
	v_add_f16_e64 v126, v249, v126
	v_add_f16_e64 v116, v248, v116
	v_fma_f16 v248, 0xb8d2, v88, v246
	v_fma_f16 v246, v88, 0xb8d2, -v246
	v_pk_add_f16 v87, v94, v87
	s_delay_alu instid0(VALU_DEP_3) | instskip(SKIP_1) | instid1(VALU_DEP_4)
	v_add_f16_e64 v143, v248, v143
	v_mul_f16_e64 v248, 0xb8d2, v247
	v_add_f16_e64 v144, v246, v144
	v_mul_f16_e64 v246, 0x3b29, v153
	v_mul_f16_e64 v153, 0xbbb2, v153
	v_pk_add_f16 v87, v91, v87
	v_fma_f16 v249, 0x3a62, v152, v248
	v_fmac_f16_e64 v248, 0xba62, v152
	v_bfi_b32 v91, 0xffff, v95, v93
	s_delay_alu instid0(VALU_DEP_3) | instskip(NEXT) | instid1(VALU_DEP_3)
	v_add_f16_e64 v151, v249, v151
	v_add_f16_e64 v120, v248, v120
	v_fma_f16 v248, 0x3722, v88, v246
	v_fma_f16 v246, v88, 0x3722, -v246
	v_pk_add_f16 v87, v91, v87
	v_pack_b32_f16 v131, v143, v151
	v_pk_fma_f16 v151, 0x35c8, v74, v78 op_sel:[0,0,1] op_sel_hi:[0,1,0]
	v_pk_fma_f16 v74, 0x35c8, v74, v78 op_sel:[0,0,1] op_sel_hi:[0,1,0] neg_lo:[0,1,0] neg_hi:[0,1,0]
	v_alignbit_b32 v143, s0, v138, 16
	v_add_f16_e64 v146, v246, v146
	v_fma_f16 v246, 0xb461, v88, v153
	v_fma_f16 v153, v88, 0xb461, -v153
	v_pk_add_f16 v74, v74, v84
	v_pk_mul_f16 v84, 0xbacd, v101 op_sel_hi:[0,1]
	v_pk_add_f16 v143, v86, v143
	v_alignbit_b32 v86, s0, v86, 16
	v_pk_mul_f16 v88, 0x2de8, v88 op_sel_hi:[0,1]
	v_add_f16_e64 v145, v248, v145
	v_pk_fma_f16 v101, 0xb836, v100, v84 op_sel:[0,0,1] op_sel_hi:[0,1,0]
	v_pk_fma_f16 v84, 0xb836, v100, v84 op_sel:[0,0,1] op_sel_hi:[0,1,0] neg_lo:[0,1,0] neg_hi:[0,1,0]
	v_pk_add_f16 v78, v86, v138
	v_alignbit_b32 v86, s0, v151, 16
	v_mul_f16_e64 v248, 0x3722, v247
	v_alignbit_b32 v100, s0, v101, 16
	v_pk_add_f16 v74, v84, v74
	v_pk_mul_f16 v84, 0x39e9, v98 op_sel_hi:[0,1]
	v_pk_add_f16 v86, v86, v143
	v_pk_add_f16 v78, v151, v78
	v_add_f16_e64 v109, v246, v109
	v_mul_f16_e64 v246, 0xb461, v247
	v_pk_fma_f16 v98, 0x3964, v235, v84 op_sel:[0,0,1] op_sel_hi:[0,1,0]
	v_pk_fma_f16 v84, 0x3964, v235, v84 op_sel:[0,0,1] op_sel_hi:[0,1,0] neg_lo:[0,1,0] neg_hi:[0,1,0]
	v_pk_add_f16 v86, v100, v86
	v_pk_add_f16 v78, v101, v78
	v_fma_f16 v249, 0xbb29, v152, v248
	v_alignbit_b32 v101, s0, v98, 16
	v_pk_add_f16 v74, v84, v74
	v_pk_mul_f16 v84, 0xb8d2, v99 op_sel_hi:[0,1]
	v_pk_add_f16 v78, v98, v78
	v_fma_f16 v247, 0x3bb2, v152, v246
	v_pk_add_f16 v86, v101, v86
	v_fmac_f16_e64 v248, 0x3b29, v152
	v_pk_fma_f16 v99, 0xba62, v236, v84 op_sel:[0,0,1] op_sel_hi:[0,1,0]
	v_pk_fma_f16 v84, 0xba62, v236, v84 op_sel:[0,0,1] op_sel_hi:[0,1,0] neg_lo:[0,1,0] neg_hi:[0,1,0]
	v_fmac_f16_e64 v246, 0xbbb2, v152
	v_add_f16_e64 v148, v249, v148
	v_add_f16_e64 v147, v247, v147
	v_alignbit_b32 v98, s0, v99, 16
	v_pk_add_f16 v74, v84, v74
	v_pk_mul_f16 v84, 0x3722, v239 op_sel_hi:[0,1]
	v_pk_add_f16 v78, v99, v78
	v_add_f16_e64 v89, v248, v89
	v_pk_add_f16 v86, v98, v86
	v_add_f16_e64 v122, v153, v122
	v_pk_fma_f16 v98, 0x3b29, v238, v84 op_sel:[0,0,1] op_sel_hi:[0,1,0]
	v_pk_fma_f16 v84, 0x3b29, v238, v84 op_sel:[0,0,1] op_sel_hi:[0,1,0] neg_lo:[0,1,0] neg_hi:[0,1,0]
	v_add_f16_e64 v107, v246, v107
	v_pack_b32_f16 v100, v137, v126
	v_pack_b32_f16 v101, v109, v147
	v_alignbit_b32 v97, s0, v98, 16
	v_pk_add_f16 v74, v84, v74
	v_pk_mul_f16 v84, 0xb461, v240 op_sel_hi:[0,1]
	v_pk_add_f16 v78, v98, v78
	v_pack_b32_f16 v93, v145, v148
	v_pk_add_f16 v86, v97, v86
	ds_store_2addr_b32 v142, v90, v111 offset1:1
	ds_store_2addr_b32 v142, v124, v118 offset0:2 offset1:3
	ds_store_2addr_b32 v142, v100, v131 offset0:4 offset1:5
	;; [unrolled: 1-line block ×3, first 2 shown]
	v_pk_fma_f16 v94, 0xbbb2, v96, v84 op_sel:[0,0,1] op_sel_hi:[0,1,0]
	v_pk_fma_f16 v84, 0xbbb2, v96, v84 op_sel:[0,0,1] op_sel_hi:[0,1,0] neg_lo:[0,1,0] neg_hi:[0,1,0]
	v_pack_b32_f16 v90, v144, v120
	s_delay_alu instid0(VALU_DEP_3) | instskip(NEXT) | instid1(VALU_DEP_3)
	v_alignbit_b32 v92, s0, v94, 16
	v_pk_add_f16 v74, v84, v74
	v_pk_add_f16 v78, v94, v78
	v_pk_fma_f16 v84, 0x3bf7, v152, v88 op_sel:[0,0,1] op_sel_hi:[0,1,0]
	v_pk_fma_f16 v88, 0x3bf7, v152, v88 op_sel:[0,0,1] op_sel_hi:[0,1,0] neg_lo:[0,1,0] neg_hi:[0,1,0]
	v_pk_add_f16 v86, v92, v86
	v_bfi_b32 v92, 0xffff, v243, v237
	s_delay_alu instid0(VALU_DEP_4) | instskip(SKIP_2) | instid1(VALU_DEP_4)
	v_alignbit_b32 v91, s0, v84, 16
	v_pk_add_f16 v78, v84, v78
	v_pk_add_f16 v74, v88, v74
	;; [unrolled: 1-line block ×3, first 2 shown]
	v_bfi_b32 v87, 0xffff, v245, v244
	v_pk_add_f16 v86, v91, v86
	v_pack_b32_f16 v88, v122, v107
	v_alignbit_b32 v78, v78, v74, 16
	v_pack_b32_f16 v91, v103, v106
	v_pk_add_f16 v84, v87, v84
	v_bfi_b32 v87, 0xffff, v136, v149
	v_pack_b32_f16 v74, v86, v74
	v_pack_b32_f16 v86, v146, v89
	;; [unrolled: 1-line block ×4, first 2 shown]
	v_pk_add_f16 v84, v87, v84
	v_bfi_b32 v87, 0xffff, v128, v150
	s_delay_alu instid0(VALU_DEP_1)
	v_pk_add_f16 v84, v87, v84
	ds_store_2addr_b32 v142, v74, v78 offset0:8 offset1:9
	ds_store_2addr_b32 v142, v88, v86 offset0:10 offset1:11
	;; [unrolled: 1-line block ×4, first 2 shown]
	ds_store_b32 v142, v84 offset:64
	s_and_saveexec_b32 s0, vcc_lo
	s_cbranch_execz .LBB0_13
; %bb.12:
	v_add_f16_e32 v74, v75, v69
	v_sub_f16_e32 v84, v81, v83
	v_add_f16_e32 v78, v83, v81
	v_add_f16_e64 v92, v139, v75
	v_sub_f16_e64 v75, v75, v139
	v_add_f16_e32 v74, v70, v74
	v_add_f16_e64 v109, v140, v222
	v_add_f16_e64 v111, v226, v224
	;; [unrolled: 1-line block ×3, first 2 shown]
	v_add_f16_e32 v118, v25, v21
	v_add_f16_e32 v74, v71, v74
	v_add_f16_e64 v122, v225, v19
	v_add_f16_e64 v126, v23, v221
	v_mul_f16_e64 v128, 0xb1e1, v84
	v_sub_f16_e64 v131, v224, v226
	v_add_f16_e32 v74, v76, v74
	v_add_f16_e64 v136, v22, v20
	v_sub_f16_e64 v137, v220, v24
	v_sub_f16_e64 v141, v21, v25
	v_mul_f16_e64 v133, 0x3b29, v131
	v_add_f16_e32 v74, v77, v74
	v_sub_f16_e64 v143, v19, v225
	v_mul_f16_e64 v138, 0xbbf7, v137
	v_mul_f16_e64 v142, 0x3a62, v141
	v_add_f16_e64 v146, v223, v18
	v_add_f16_e32 v74, v81, v74
	v_sub_f16_e32 v81, v85, v82
	v_mul_f16_e64 v144, 0xb5c8, v143
	v_sub_f16_e64 v147, v221, v23
	v_sub_f16_e64 v149, v20, v22
	v_add_f16_e32 v86, v85, v74
	v_add_f16_e32 v74, v82, v85
	v_mul_f16_e64 v250, 0xbbdd, v111
	v_mul_f16_e64 v148, 0xb1e1, v147
	;; [unrolled: 1-line block ×3, first 2 shown]
	v_add_f16_e32 v85, v72, v86
	v_mov_b32_e32 v29, v164
	v_mul_f16_e64 v164, 0xb8d2, v111
	v_mov_b32_e32 v31, v166
	v_dual_mov_b32 v45, v194 :: v_dual_mov_b32 v228, v175
	v_add_f16_e32 v85, v73, v85
	v_dual_mov_b32 v37, v187 :: v_dual_mov_b32 v230, v177
	v_dual_mov_b32 v187, v170 :: v_dual_mov_b32 v232, v179
	s_delay_alu instid0(VALU_DEP_3) | instskip(SKIP_3) | instid1(VALU_DEP_4)
	v_add_f16_e32 v82, v82, v85
	v_sub_f16_e64 v85, v222, v140
	v_mov_b32_e32 v33, v195
	v_dual_mov_b32 v195, v172 :: v_dual_mov_b32 v28, v183
	v_add_f16_e32 v83, v83, v82
	s_delay_alu instid0(VALU_DEP_4)
	v_mul_f16_e32 v90, 0xbb29, v85
	v_mul_f16_e32 v91, 0xb964, v85
	v_sub_f16_e32 v82, v77, v79
	v_add_f16_e32 v77, v79, v77
	v_add_f16_e32 v83, v79, v83
	v_fmamk_f16 v98, v92, 0x3722, v90
	v_fma_f16 v90, v92, 0x3722, -v90
	v_sub_f16_e32 v79, v76, v80
	v_add_f16_e32 v76, v80, v76
	v_mul_f16_e32 v86, 0xb836, v85
	v_add_f16_e32 v83, v80, v83
	v_mul_f16_e32 v80, 0xb1e1, v85
	v_mul_f16_e32 v87, 0xba62, v85
	;; [unrolled: 1-line block ×5, first 2 shown]
	v_fmamk_f16 v99, v92, 0x39e9, v91
	v_fma_f16 v91, v92, 0x39e9, -v91
	v_add_f16_e32 v26, v69, v90
	v_fma_f16 v94, v92, 0xbacd, -v86
	v_fmac_f16_e32 v86, 0xbacd, v92
	v_fmamk_f16 v100, v92, 0x3b76, v85
	v_fma_f16 v85, v92, 0x3b76, -v85
	scratch_store_b32 off, v26, off offset:156 ; 4-byte Folded Spill
	v_add_f16_e32 v26, v69, v91
	v_add_f16_e32 v101, v69, v86
	;; [unrolled: 1-line block ×3, first 2 shown]
	v_mul_f16_e32 v90, 0xb836, v75
	v_sub_f16_e32 v83, v71, v68
	scratch_store_b32 off, v26, off offset:148 ; 4-byte Folded Spill
	v_add_f16_e32 v26, v69, v85
	v_sub_f16_e32 v85, v70, v67
	v_add_f16_e32 v68, v68, v71
	v_add_f16_e32 v71, v67, v70
	v_add_f16_e32 v107, v67, v86
	v_fmamk_f16 v67, v109, 0xbacd, v90
	v_mul_f16_e32 v91, 0x3b29, v85
	v_mul_f16_e32 v116, 0xbbf7, v83
	;; [unrolled: 1-line block ×4, first 2 shown]
	v_add_f16_e64 v67, v219, v67
	v_fmamk_f16 v70, v111, 0x3722, v91
	v_fma_f16 v93, v92, 0xbbdd, -v80
	v_fmac_f16_e32 v80, 0xbbdd, v92
	v_fmamk_f16 v95, v92, 0xb8d2, v87
	v_fma_f16 v87, v92, 0xb8d2, -v87
	v_add_f16_e32 v67, v70, v67
	v_fmamk_f16 v70, v113, 0x2de8, v116
	v_fmamk_f16 v96, v92, 0xb461, v88
	v_fma_f16 v88, v92, 0xb461, -v88
	v_fmamk_f16 v97, v92, 0x2de8, v89
	v_fma_f16 v89, v92, 0x2de8, -v89
	v_add_f16_e32 v67, v70, v67
	v_fmamk_f16 v70, v118, 0xb8d2, v120
	v_add_f16_e32 v92, v69, v94
	v_add_f16_e32 v106, v69, v88
	scratch_store_b32 off, v26, off offset:144 ; 4-byte Folded Spill
	v_mul_f16_e64 v151, 0x35c8, v85
	v_add_f16_e32 v67, v70, v67
	v_fmamk_f16 v70, v122, 0x3b76, v124
	v_add_f16_e32 v93, v69, v93
	v_add_f16_e32 v94, v69, v80
	v_fma_f16 v152, 0x3b76, v111, v151
	v_fma_f16 v151, v111, 0x3b76, -v151
	v_add_f16_e32 v67, v70, v67
	v_fma_f16 v70, 0xbbdd, v126, v128
	v_fma_f16 v90, v109, 0xbacd, -v90
	v_fma_f16 v91, v111, 0x3722, -v91
	v_add_f16_e32 v95, v69, v95
	v_add_f16_e32 v96, v69, v96
	;; [unrolled: 1-line block ×3, first 2 shown]
	v_fma_f16 v70, v71, 0x3722, -v133
	v_add_f16_e64 v90, v219, v90
	v_fmac_f16_e64 v133, 0x3722, v71
	v_fma_f16 v251, 0x31e1, v85, v250
	v_add_f16_e32 v97, v69, v97
	v_add_f16_e32 v70, v70, v92
	v_mul_f16_e32 v92, 0x3964, v81
	v_add_f16_e32 v90, v91, v90
	v_add_f16_e32 v103, v69, v87
	v_dual_mov_b32 v87, v165 :: v_dual_mov_b32 v194, v169
	s_delay_alu instid0(VALU_DEP_4)
	v_fma_f16 v86, 0x39e9, v136, v92
	v_fma_f16 v92, v136, 0x39e9, -v92
	v_fma_f16 v165, 0x3a62, v85, v164
	v_add_f16_e32 v98, v69, v98
	v_add_f16_e32 v99, v69, v99
	v_add_f16_e32 v67, v86, v67
	v_fma_f16 v86, v68, 0x2de8, -v138
	v_fmac_f16_e64 v138, 0x2de8, v68
	v_add_f16_e32 v100, v69, v100
	v_add_f16_e32 v89, v69, v89
	v_mov_b32_e32 v69, v193
	v_add_f16_e32 v70, v86, v70
	v_fma_f16 v86, v76, 0xb8d2, -v142
	v_fmac_f16_e64 v142, 0xb8d2, v76
	v_mov_b32_e32 v193, v167
	v_dual_mov_b32 v227, v130 :: v_dual_mov_b32 v34, v197
	s_delay_alu instid0(VALU_DEP_4)
	v_add_f16_e32 v70, v86, v70
	v_fma_f16 v86, v77, 0x3b76, -v144
	v_fmac_f16_e64 v144, 0x3b76, v77
	v_mov_b32_e32 v130, v174
	scratch_store_b32 off, v66, off offset:124 ; 4-byte Folded Spill
	v_dual_mov_b32 v229, v176 :: v_dual_mov_b32 v36, v199
	v_add_f16_e32 v70, v86, v70
	v_sub_f16_e32 v86, v72, v73
	v_add_f16_e32 v72, v73, v72
	v_fma_f16 v73, v74, 0x39e9, -v150
	v_fmac_f16_e64 v150, 0x39e9, v74
	v_dual_mov_b32 v231, v178 :: v_dual_mov_b32 v38, v201
	v_mul_f16_e64 v145, 0xbbb2, v86
	v_dual_mov_b32 v233, v180 :: v_dual_mov_b32 v40, v203
	v_mul_f16_e64 v180, 0x2de8, v111
	v_mov_b32_e32 v27, v184
	s_delay_alu instid0(VALU_DEP_4)
	v_fma_f16 v88, 0xb461, v146, v145
	v_mov_b32_e32 v35, v198
	v_add_f16_e64 v107, v139, v107
	v_fmac_f16_e64 v250, 0xb1e1, v85
	v_fmac_f16_e64 v164, 0xba62, v85
	v_add_f16_e32 v26, v88, v67
	v_fma_f16 v88, v78, 0xbbdd, -v148
	v_fmac_f16_e64 v148, 0xbbdd, v78
	v_dual_mov_b32 v67, v65 :: v_dual_mov_b32 v66, v64
	scratch_store_b32 off, v26, off offset:140 ; 4-byte Folded Spill
	v_add_f16_e32 v70, v88, v70
	v_mul_f16_e32 v88, 0xb1e1, v75
	v_dual_mov_b32 v65, v63 :: v_dual_mov_b32 v64, v62
	v_dual_mov_b32 v63, v61 :: v_dual_mov_b32 v62, v60
	s_delay_alu instid0(VALU_DEP_4) | instskip(NEXT) | instid1(VALU_DEP_4)
	v_add_f16_e32 v70, v73, v70
	v_fmamk_f16 v73, v109, 0xbbdd, v88
	v_fma_f16 v88, v109, 0xbbdd, -v88
	v_dual_mov_b32 v61, v59 :: v_dual_mov_b32 v60, v58
	v_dual_mov_b32 v59, v57 :: v_dual_mov_b32 v58, v56
	s_delay_alu instid0(VALU_DEP_4) | instskip(NEXT) | instid1(VALU_DEP_4)
	v_add_f16_e64 v73, v219, v73
	v_add_f16_e64 v88, v219, v88
	v_dual_mov_b32 v57, v55 :: v_dual_mov_b32 v56, v54
	v_dual_mov_b32 v55, v53 :: v_dual_mov_b32 v54, v52
	s_delay_alu instid0(VALU_DEP_4) | instskip(SKIP_4) | instid1(VALU_DEP_4)
	v_add_f16_e64 v73, v152, v73
	v_sub_f16_e64 v152, v18, v223
	v_add_f16_e64 v88, v151, v88
	v_dual_mov_b32 v53, v51 :: v_dual_mov_b32 v52, v50
	v_dual_mov_b32 v51, v49 :: v_dual_mov_b32 v50, v48
	v_mul_f16_e64 v153, 0xbbb2, v152
	v_dual_mov_b32 v49, v47 :: v_dual_mov_b32 v48, v46
	v_dual_mov_b32 v47, v161 :: v_dual_mov_b32 v234, v181
	s_delay_alu instid0(VALU_DEP_3)
	v_fma_f16 v235, v72, 0xb461, -v153
	v_fmac_f16_e64 v153, 0xb461, v72
	v_fma_f16 v181, 0x3bf7, v85, v180
	v_fmac_f16_e64 v180, 0xbbf7, v85
	v_mov_b32_e32 v32, v196
	v_add_f16_e64 v26, v235, v70
	v_mul_f16_e64 v235, 0xb836, v83
	v_dual_mov_b32 v70, v191 :: v_dual_mov_b32 v191, v171
	v_mov_b32_e32 v80, v158
	scratch_store_b32 off, v26, off offset:152 ; 4-byte Folded Spill
	v_fma_f16 v236, 0xbacd, v113, v235
	v_fma_f16 v151, v113, 0xbacd, -v235
	v_mov_b32_e32 v42, v160
	v_mov_b32_e32 v46, v212
	;; [unrolled: 1-line block ×3, first 2 shown]
	v_add_f16_e64 v73, v236, v73
	v_mul_f16_e64 v236, 0x3964, v79
	v_add_f16_e64 v88, v151, v88
	v_mul_f16_e64 v151, 0xbbb2, v149
	v_mov_b32_e32 v39, v202
	v_mov_b32_e32 v41, v204
	v_fma_f16 v237, 0x39e9, v118, v236
	v_mov_b32_e32 v30, v162
	v_fma_f16 v235, v74, 0xb461, -v151
	v_fmac_f16_e64 v151, 0xb461, v74
	s_delay_alu instid0(VALU_DEP_4) | instskip(SKIP_1) | instid1(VALU_DEP_1)
	v_add_f16_e64 v73, v237, v73
	v_mul_f16_e64 v237, 0x35c8, v131
	v_fma_f16 v238, v71, 0x3b76, -v237
	v_fmac_f16_e64 v237, 0x3b76, v71
	s_delay_alu instid0(VALU_DEP_2) | instskip(SKIP_1) | instid1(VALU_DEP_3)
	v_add_f16_e64 v93, v238, v93
	v_mul_f16_e64 v238, 0xba62, v82
	v_add_f16_e64 v94, v237, v94
	s_delay_alu instid0(VALU_DEP_2) | instskip(NEXT) | instid1(VALU_DEP_1)
	v_fma_f16 v239, 0xb8d2, v122, v238
	v_add_f16_e64 v73, v239, v73
	v_mul_f16_e64 v239, 0xb836, v137
	s_delay_alu instid0(VALU_DEP_1) | instskip(SKIP_1) | instid1(VALU_DEP_2)
	v_fma_f16 v240, v68, 0xbacd, -v239
	v_fmac_f16_e64 v239, 0xbacd, v68
	v_add_f16_e64 v93, v240, v93
	v_mul_f16_e64 v240, 0x3b29, v84
	s_delay_alu instid0(VALU_DEP_1) | instskip(NEXT) | instid1(VALU_DEP_1)
	v_fma_f16 v241, 0x3722, v126, v240
	v_add_f16_e64 v73, v241, v73
	v_mul_f16_e64 v241, 0x3964, v141
	s_delay_alu instid0(VALU_DEP_1) | instskip(SKIP_1) | instid1(VALU_DEP_2)
	v_fma_f16 v242, v76, 0x39e9, -v241
	v_fmac_f16_e64 v241, 0x39e9, v76
	v_add_f16_e64 v93, v242, v93
	v_mul_f16_e64 v242, 0xbbb2, v81
	s_delay_alu instid0(VALU_DEP_1) | instskip(NEXT) | instid1(VALU_DEP_1)
	;; [unrolled: 9-line block ×3, first 2 shown]
	v_fma_f16 v245, 0x2de8, v146, v244
	v_add_f16_e64 v26, v245, v73
	v_mul_f16_e64 v245, 0x3b29, v147
	v_mov_b32_e32 v73, v206
	scratch_store_b32 off, v26, off offset:160 ; 4-byte Folded Spill
	v_fma_f16 v246, v78, 0x3722, -v245
	v_fmac_f16_e64 v245, 0x3722, v78
	s_delay_alu instid0(VALU_DEP_2) | instskip(NEXT) | instid1(VALU_DEP_1)
	v_add_f16_e64 v93, v246, v93
	v_add_f16_e64 v93, v235, v93
	v_fma_f16 v235, v118, 0x39e9, -v236
	v_mul_f16_e64 v236, 0x3bf7, v152
	s_delay_alu instid0(VALU_DEP_2) | instskip(NEXT) | instid1(VALU_DEP_2)
	v_add_f16_e64 v235, v235, v88
	v_fma_f16 v88, v72, 0x2de8, -v236
	v_fmac_f16_e64 v236, 0x2de8, v72
	s_delay_alu instid0(VALU_DEP_2)
	v_add_f16_e32 v26, v88, v93
	v_add_f16_e64 v93, v239, v94
	v_fma_f16 v94, v122, 0xb8d2, -v238
	v_mov_b32_e32 v88, v209
	scratch_store_b32 off, v26, off offset:164 ; 4-byte Folded Spill
	v_add_f16_e64 v93, v241, v93
	v_add_f16_e64 v94, v94, v235
	v_fma_f16 v235, v126, 0x3722, -v240
	s_delay_alu instid0(VALU_DEP_3) | instskip(SKIP_1) | instid1(VALU_DEP_3)
	v_add_f16_e64 v91, v243, v93
	v_fma_f16 v93, v136, 0xb461, -v242
	v_add_f16_e64 v94, v235, v94
	s_delay_alu instid0(VALU_DEP_3) | instskip(NEXT) | instid1(VALU_DEP_2)
	v_add_f16_e64 v91, v245, v91
	v_add_f16_e32 v93, v93, v94
	v_fma_f16 v94, v113, 0x2de8, -v116
	v_mul_f16_e32 v116, 0xb461, v111
	s_delay_alu instid0(VALU_DEP_4) | instskip(NEXT) | instid1(VALU_DEP_3)
	v_add_f16_e64 v91, v151, v91
	v_add_f16_e32 v94, v94, v90
	v_fma_f16 v90, v146, 0x2de8, -v244
	s_delay_alu instid0(VALU_DEP_1)
	v_add_f16_e32 v26, v90, v93
	v_fma_f16 v93, v118, 0xb8d2, -v120
	v_fmamk_f16 v120, v85, 0xbbb2, v116
	v_fmac_f16_e32 v116, 0x3bb2, v85
	scratch_store_b32 off, v26, off offset:168 ; 4-byte Folded Spill
	v_add_f16_e32 v93, v93, v94
	v_fma_f16 v94, v122, 0x3b76, -v124
	v_add_f16_e64 v26, v236, v91
	v_dual_mov_b32 v90, v207 :: v_dual_mov_b32 v91, v208
	s_delay_alu instid0(VALU_DEP_3)
	v_add_f16_e32 v93, v94, v93
	v_add_f16_e64 v94, v133, v101
	v_fma_f16 v101, v126, 0xbbdd, -v128
	scratch_store_b32 off, v26, off offset:172 ; 4-byte Folded Spill
	v_add_f16_e64 v94, v138, v94
	v_add_f16_e32 v93, v101, v93
	s_delay_alu instid0(VALU_DEP_1) | instskip(NEXT) | instid1(VALU_DEP_3)
	v_add_f16_e32 v92, v92, v93
	v_add_f16_e64 v93, v142, v94
	v_mul_f16_e32 v94, 0xb8d2, v109
	s_delay_alu instid0(VALU_DEP_2) | instskip(NEXT) | instid1(VALU_DEP_2)
	v_add_f16_e64 v93, v144, v93
	v_fmamk_f16 v101, v75, 0x3a62, v94
	v_fmac_f16_e32 v94, 0xba62, v75
	s_delay_alu instid0(VALU_DEP_3) | instskip(NEXT) | instid1(VALU_DEP_3)
	v_add_f16_e64 v93, v148, v93
	v_add_f16_e64 v101, v219, v101
	s_delay_alu instid0(VALU_DEP_3) | instskip(NEXT) | instid1(VALU_DEP_3)
	v_add_f16_e64 v94, v219, v94
	v_add_f16_e64 v93, v150, v93
	s_delay_alu instid0(VALU_DEP_3) | instskip(SKIP_1) | instid1(VALU_DEP_4)
	v_add_f16_e32 v101, v120, v101
	v_fma_f16 v120, v146, 0xb461, -v145
	v_add_f16_e32 v94, v116, v94
	v_mul_f16_e64 v116, 0xb836, v149
	s_delay_alu instid0(VALU_DEP_3)
	v_add_f16_e32 v26, v120, v92
	v_mul_f16_e32 v120, 0x3b76, v113
	v_mov_b32_e32 v92, v186
	v_mov_b32_e32 v186, v168
	scratch_store_b32 off, v26, off offset:176 ; 4-byte Folded Spill
	v_fmamk_f16 v124, v83, 0x35c8, v120
	v_add_f16_e64 v26, v153, v93
	v_mul_f16_e64 v153, 0xbacd, v111
	v_dual_mov_b32 v93, v188 :: v_dual_mov_b32 v188, v173
	s_delay_alu instid0(VALU_DEP_4) | instskip(SKIP_1) | instid1(VALU_DEP_4)
	v_add_f16_e32 v101, v124, v101
	v_mul_f16_e32 v124, 0xbacd, v118
	v_fma_f16 v235, 0xb836, v85, v153
	scratch_store_b32 off, v26, off offset:180 ; 4-byte Folded Spill
	v_mul_f16_e32 v111, 0x39e9, v111
	v_fmac_f16_e32 v120, 0xb5c8, v83
	v_fma_f16 v128, 0x3836, v79, v124
	v_fmac_f16_e32 v124, 0xb836, v79
	v_fmac_f16_e64 v153, 0x3836, v85
	v_fma_f16 v206, 0x3964, v85, v111
	v_add_f16_e32 v94, v120, v94
	v_add_f16_e64 v101, v128, v101
	v_mul_f16_e64 v128, 0x2de8, v122
	v_fmac_f16_e32 v111, 0xb964, v85
	v_mul_f16_e64 v120, 0xb1e1, v152
	v_add_f16_e32 v94, v124, v94
	s_delay_alu instid0(VALU_DEP_4) | instskip(SKIP_1) | instid1(VALU_DEP_2)
	v_fma_f16 v133, 0xbbf7, v82, v128
	v_fmac_f16_e64 v128, 0x3bf7, v82
	v_add_f16_e64 v101, v133, v101
	v_mul_f16_e64 v133, 0x39e9, v126
	s_delay_alu instid0(VALU_DEP_3) | instskip(NEXT) | instid1(VALU_DEP_2)
	v_add_f16_e64 v94, v128, v94
	v_fma_f16 v138, 0x3964, v84, v133
	v_fmac_f16_e64 v133, 0xb964, v84
	s_delay_alu instid0(VALU_DEP_2) | instskip(SKIP_1) | instid1(VALU_DEP_3)
	v_add_f16_e64 v101, v138, v101
	v_mul_f16_e64 v138, 0x3bb2, v131
	v_add_f16_e64 v94, v133, v94
	s_delay_alu instid0(VALU_DEP_2) | instskip(SKIP_1) | instid1(VALU_DEP_2)
	v_fma_f16 v142, 0xb461, v71, v138
	v_fma_f16 v128, v71, 0xb461, -v138
	v_add_f16_e64 v95, v142, v95
	v_mul_f16_e64 v142, 0xbbdd, v136
	s_delay_alu instid0(VALU_DEP_3) | instskip(NEXT) | instid1(VALU_DEP_2)
	v_add_f16_e64 v103, v128, v103
	v_fma_f16 v144, 0x31e1, v81, v142
	v_fmac_f16_e64 v142, 0xb1e1, v81
	s_delay_alu instid0(VALU_DEP_2) | instskip(SKIP_1) | instid1(VALU_DEP_3)
	v_add_f16_e64 v101, v144, v101
	v_mul_f16_e64 v144, 0xb5c8, v137
	v_add_f16_e64 v94, v142, v94
	s_delay_alu instid0(VALU_DEP_2) | instskip(SKIP_1) | instid1(VALU_DEP_2)
	v_fma_f16 v145, 0x3b76, v68, v144
	v_fma_f16 v128, v68, 0x3b76, -v144
	v_add_f16_e64 v95, v145, v95
	v_mul_f16_e64 v145, 0xb836, v141
	s_delay_alu instid0(VALU_DEP_3) | instskip(NEXT) | instid1(VALU_DEP_2)
	v_add_f16_e64 v103, v128, v103
	v_fma_f16 v148, 0xbacd, v76, v145
	v_fma_f16 v128, v76, 0xbacd, -v145
	s_delay_alu instid0(VALU_DEP_2) | instskip(SKIP_1) | instid1(VALU_DEP_3)
	v_add_f16_e64 v95, v148, v95
	v_mul_f16_e64 v148, 0x3bf7, v143
	v_add_f16_e64 v103, v128, v103
	s_delay_alu instid0(VALU_DEP_2) | instskip(SKIP_1) | instid1(VALU_DEP_2)
	v_fma_f16 v150, 0x2de8, v77, v148
	v_fma_f16 v133, v77, 0x2de8, -v148
	v_add_f16_e64 v95, v150, v95
	v_mul_f16_e64 v150, 0xb461, v109
	s_delay_alu instid0(VALU_DEP_3) | instskip(NEXT) | instid1(VALU_DEP_2)
	v_add_f16_e64 v103, v133, v103
	v_fma_f16 v151, 0x3bb2, v75, v150
	v_fmac_f16_e64 v150, 0xbbb2, v75
	s_delay_alu instid0(VALU_DEP_2) | instskip(NEXT) | instid1(VALU_DEP_2)
	v_add_f16_e64 v151, v219, v151
	v_add_f16_e64 v128, v219, v150
	s_delay_alu instid0(VALU_DEP_2) | instskip(SKIP_1) | instid1(VALU_DEP_3)
	v_add_f16_e64 v151, v235, v151
	v_mul_f16_e64 v235, 0xb964, v147
	v_add_f16_e64 v128, v153, v128
	s_delay_alu instid0(VALU_DEP_2) | instskip(SKIP_1) | instid1(VALU_DEP_2)
	v_fma_f16 v236, 0x39e9, v78, v235
	v_fma_f16 v133, v78, 0x39e9, -v235
	v_add_f16_e64 v95, v236, v95
	v_mul_f16_e64 v236, 0x39e9, v113
	s_delay_alu instid0(VALU_DEP_3) | instskip(NEXT) | instid1(VALU_DEP_2)
	v_add_f16_e64 v103, v133, v103
	v_fma_f16 v237, 0xb964, v83, v236
	v_fmac_f16_e64 v236, 0x3964, v83
	s_delay_alu instid0(VALU_DEP_2) | instskip(SKIP_1) | instid1(VALU_DEP_3)
	v_add_f16_e64 v151, v237, v151
	v_mul_f16_e64 v237, 0x3722, v146
	v_add_f16_e64 v128, v236, v128
	s_delay_alu instid0(VALU_DEP_2) | instskip(SKIP_1) | instid1(VALU_DEP_2)
	v_fma_f16 v238, 0xbb29, v86, v237
	v_fmac_f16_e64 v237, 0x3b29, v86
	v_add_f16_e64 v26, v238, v101
	v_mul_f16_e64 v238, 0xb1e1, v149
	v_mov_b32_e32 v101, v213
	v_mov_b32_e32 v213, v159
	v_add_f16_e64 v94, v237, v94
	scratch_store_b32 off, v26, off offset:184 ; 4-byte Folded Spill
	v_fma_f16 v239, 0xbbdd, v74, v238
	s_delay_alu instid0(VALU_DEP_1) | instskip(SKIP_1) | instid1(VALU_DEP_1)
	v_add_f16_e64 v95, v239, v95
	v_mul_f16_e64 v239, 0x3722, v118
	v_fma_f16 v240, 0x3b29, v79, v239
	v_fmac_f16_e64 v239, 0xbb29, v79
	s_delay_alu instid0(VALU_DEP_2) | instskip(SKIP_1) | instid1(VALU_DEP_3)
	v_add_f16_e64 v151, v240, v151
	v_mul_f16_e64 v240, 0xbbdd, v122
	v_add_f16_e64 v128, v239, v128
	s_delay_alu instid0(VALU_DEP_2) | instskip(SKIP_1) | instid1(VALU_DEP_2)
	v_fma_f16 v241, 0x31e1, v82, v240
	v_fmac_f16_e64 v240, 0xb1e1, v82
	v_add_f16_e64 v151, v241, v151
	v_mul_f16_e64 v241, 0x2de8, v126
	s_delay_alu instid0(VALU_DEP_3) | instskip(NEXT) | instid1(VALU_DEP_2)
	v_add_f16_e64 v128, v240, v128
	v_fma_f16 v242, 0xbbf7, v84, v241
	v_fmac_f16_e64 v241, 0x3bf7, v84
	s_delay_alu instid0(VALU_DEP_2) | instskip(SKIP_1) | instid1(VALU_DEP_3)
	v_add_f16_e64 v151, v242, v151
	v_mul_f16_e64 v242, 0x3836, v131
	v_add_f16_e64 v128, v241, v128
	s_delay_alu instid0(VALU_DEP_2) | instskip(SKIP_1) | instid1(VALU_DEP_2)
	v_fma_f16 v243, 0xbacd, v71, v242
	v_fma_f16 v133, v71, 0xbacd, -v242
	v_add_f16_e64 v96, v243, v96
	v_mul_f16_e64 v243, 0x3b29, v152
	s_delay_alu instid0(VALU_DEP_3) | instskip(SKIP_1) | instid1(VALU_DEP_3)
	v_add_f16_e64 v106, v133, v106
	v_fma_f16 v133, v74, 0xbbdd, -v238
	v_fma_f16 v244, 0x3722, v72, v243
	s_delay_alu instid0(VALU_DEP_2) | instskip(NEXT) | instid1(VALU_DEP_2)
	v_add_f16_e64 v103, v133, v103
	v_add_f16_e64 v26, v244, v95
	v_mul_f16_e64 v244, 0x3b76, v136
	v_mov_b32_e32 v95, v211
	v_mov_b32_e32 v211, v155
	scratch_store_b32 off, v26, off offset:188 ; 4-byte Folded Spill
	v_fma_f16 v245, 0x35c8, v81, v244
	v_fmac_f16_e64 v244, 0xb5c8, v81
	s_delay_alu instid0(VALU_DEP_2) | instskip(SKIP_1) | instid1(VALU_DEP_3)
	v_add_f16_e64 v151, v245, v151
	v_mul_f16_e64 v245, 0x3964, v137
	v_add_f16_e64 v128, v244, v128
	s_delay_alu instid0(VALU_DEP_2) | instskip(SKIP_1) | instid1(VALU_DEP_2)
	v_fma_f16 v246, 0x39e9, v68, v245
	v_fma_f16 v133, v68, 0x39e9, -v245
	v_add_f16_e64 v96, v246, v96
	v_mul_f16_e64 v246, 0xbb29, v141
	s_delay_alu instid0(VALU_DEP_3) | instskip(NEXT) | instid1(VALU_DEP_2)
	v_add_f16_e64 v106, v133, v106
	v_fma_f16 v247, 0x3722, v76, v246
	v_fma_f16 v133, v76, 0x3722, -v246
	s_delay_alu instid0(VALU_DEP_2) | instskip(SKIP_1) | instid1(VALU_DEP_3)
	v_add_f16_e64 v96, v247, v96
	v_mul_f16_e64 v247, 0xb1e1, v143
	v_add_f16_e64 v106, v133, v106
	v_fma_f16 v133, v72, 0x3722, -v243
	s_delay_alu instid0(VALU_DEP_3) | instskip(NEXT) | instid1(VALU_DEP_2)
	v_fma_f16 v248, 0xbbdd, v77, v247
	v_add_f16_e64 v103, v133, v103
	v_fma_f16 v133, v77, 0xbbdd, -v247
	s_delay_alu instid0(VALU_DEP_3) | instskip(SKIP_1) | instid1(VALU_DEP_3)
	v_add_f16_e64 v96, v248, v96
	v_mul_f16_e64 v248, 0x2de8, v109
	v_add_f16_e64 v106, v133, v106
	s_delay_alu instid0(VALU_DEP_2) | instskip(SKIP_1) | instid1(VALU_DEP_2)
	v_fma_f16 v249, 0x3bf7, v75, v248
	v_fmac_f16_e64 v248, 0xbbf7, v75
	v_add_f16_e64 v249, v219, v249
	s_delay_alu instid0(VALU_DEP_2) | instskip(NEXT) | instid1(VALU_DEP_2)
	v_add_f16_e64 v133, v219, v248
	v_add_f16_e64 v249, v251, v249
	v_mul_f16_e64 v251, 0x3bf7, v147
	s_delay_alu instid0(VALU_DEP_3) | instskip(NEXT) | instid1(VALU_DEP_2)
	v_add_f16_e64 v133, v250, v133
	v_fma_f16 v252, 0x2de8, v78, v251
	v_fma_f16 v138, v78, 0x2de8, -v251
	s_delay_alu instid0(VALU_DEP_2) | instskip(SKIP_1) | instid1(VALU_DEP_3)
	v_add_f16_e64 v96, v252, v96
	v_mul_f16_e64 v252, 0xb461, v113
	v_add_f16_e64 v106, v138, v106
	s_delay_alu instid0(VALU_DEP_2) | instskip(SKIP_1) | instid1(VALU_DEP_2)
	v_fma_f16 v253, 0xbbb2, v83, v252
	v_fmac_f16_e64 v252, 0x3bb2, v83
	v_add_f16_e64 v249, v253, v249
	v_mul_f16_e64 v253, 0xb8d2, v146
	s_delay_alu instid0(VALU_DEP_3) | instskip(NEXT) | instid1(VALU_DEP_2)
	v_add_f16_e64 v133, v252, v133
	v_fma_f16 v254, 0x3a62, v86, v253
	v_fmac_f16_e64 v253, 0xba62, v86
	s_delay_alu instid0(VALU_DEP_2) | instskip(SKIP_2) | instid1(VALU_DEP_4)
	v_add_f16_e64 v26, v254, v151
	v_mul_f16_e64 v254, 0xb5c8, v149
	v_mov_b32_e32 v151, v157
	v_add_f16_e64 v128, v253, v128
	scratch_store_b32 off, v26, off offset:192 ; 4-byte Folded Spill
	v_fma_f16 v255, 0x3b76, v74, v254
	s_clause 0x2
	scratch_store_b32 off, v210, off offset:128
	scratch_store_b32 off, v154, off offset:132
	;; [unrolled: 1-line block ×3, first 2 shown]
	v_fma_f16 v138, v74, 0x3b76, -v254
	v_add_f16_e64 v96, v255, v96
	v_mul_f16_e64 v255, 0x3b76, v118
	s_delay_alu instid0(VALU_DEP_3) | instskip(NEXT) | instid1(VALU_DEP_2)
	v_add_f16_e64 v106, v138, v106
	v_fma_f16 v154, 0xb5c8, v79, v255
	v_fmac_f16_e64 v255, 0x35c8, v79
	s_delay_alu instid0(VALU_DEP_2) | instskip(SKIP_1) | instid1(VALU_DEP_3)
	v_add_f16_e64 v154, v154, v249
	v_mul_f16_e64 v249, 0x3722, v122
	v_add_f16_e64 v133, v255, v133
	s_delay_alu instid0(VALU_DEP_2) | instskip(SKIP_1) | instid1(VALU_DEP_2)
	v_fma_f16 v155, 0x3b29, v82, v249
	v_fmac_f16_e64 v249, 0xbb29, v82
	v_add_f16_e64 v154, v155, v154
	v_mul_f16_e64 v155, 0xbacd, v126
	s_delay_alu instid0(VALU_DEP_3) | instskip(NEXT) | instid1(VALU_DEP_2)
	v_add_f16_e64 v133, v249, v133
	v_fma_f16 v156, 0x3836, v84, v155
	v_fmac_f16_e64 v155, 0xb836, v84
	s_delay_alu instid0(VALU_DEP_2) | instskip(SKIP_1) | instid1(VALU_DEP_3)
	v_add_f16_e64 v154, v156, v154
	v_mul_f16_e64 v156, 0xb1e1, v131
	v_add_f16_e64 v133, v155, v133
	v_mov_b32_e32 v155, v211
	v_mov_b32_e32 v211, v95
	s_delay_alu instid0(VALU_DEP_4) | instskip(SKIP_3) | instid1(VALU_DEP_4)
	v_fma_f16 v157, 0xbbdd, v71, v156
	v_fma_f16 v138, v71, 0xbbdd, -v156
	v_mov_b32_e32 v156, v212
	v_mov_b32_e32 v212, v46
	v_add_f16_e64 v97, v157, v97
	v_mul_f16_e64 v157, 0xba62, v152
	v_add_f16_e64 v89, v138, v89
	s_delay_alu instid0(VALU_DEP_2) | instskip(NEXT) | instid1(VALU_DEP_1)
	v_fma_f16 v158, 0xb8d2, v72, v157
	v_add_f16_e64 v26, v158, v96
	v_mul_f16_e64 v158, 0xb8d2, v136
	v_mov_b32_e32 v96, v205
	scratch_store_b32 off, v26, off offset:196 ; 4-byte Folded Spill
	v_fma_f16 v159, 0xba62, v81, v158
	v_mov_b32_e32 v26, v182
	v_fmac_f16_e64 v158, 0x3a62, v81
	s_delay_alu instid0(VALU_DEP_3) | instskip(SKIP_1) | instid1(VALU_DEP_3)
	v_add_f16_e64 v154, v159, v154
	v_mul_f16_e64 v159, 0x3bb2, v137
	v_add_f16_e64 v133, v158, v133
	v_mov_b32_e32 v158, v80
	s_delay_alu instid0(VALU_DEP_3) | instskip(SKIP_3) | instid1(VALU_DEP_4)
	v_fma_f16 v160, 0xb461, v68, v159
	v_fma_f16 v138, v68, 0xb461, -v159
	v_mov_b32_e32 v159, v213
	v_mov_b32_e32 v213, v101
	v_add_f16_e64 v97, v160, v97
	v_mul_f16_e64 v160, 0x35c8, v141
	v_add_f16_e64 v89, v138, v89
	s_delay_alu instid0(VALU_DEP_2) | instskip(SKIP_2) | instid1(VALU_DEP_3)
	v_fma_f16 v161, 0x3b76, v76, v160
	v_fma_f16 v138, v76, 0x3b76, -v160
	v_mov_b32_e32 v160, v42
	v_add_f16_e64 v97, v161, v97
	v_mul_f16_e64 v161, 0xbb29, v143
	s_delay_alu instid0(VALU_DEP_4) | instskip(NEXT) | instid1(VALU_DEP_2)
	v_add_f16_e64 v89, v138, v89
	v_fma_f16 v162, 0x3722, v77, v161
	v_fma_f16 v139, v77, 0x3722, -v161
	v_dual_mov_b32 v161, v47 :: v_dual_mov_b32 v46, v48
	v_mov_b32_e32 v47, v49
	s_delay_alu instid0(VALU_DEP_4) | instskip(SKIP_4) | instid1(VALU_DEP_4)
	v_add_f16_e64 v97, v162, v97
	v_mul_f16_e64 v162, 0x3722, v109
	v_add_f16_e64 v89, v139, v89
	v_fma_f16 v139, v72, 0xb8d2, -v157
	v_dual_mov_b32 v157, v151 :: v_dual_mov_b32 v48, v50
	v_fma_f16 v163, 0x3b29, v75, v162
	v_fmac_f16_e64 v162, 0xbb29, v75
	s_delay_alu instid0(VALU_DEP_4) | instskip(SKIP_1) | instid1(VALU_DEP_4)
	v_add_f16_e64 v106, v139, v106
	v_dual_mov_b32 v49, v51 :: v_dual_mov_b32 v50, v52
	v_add_f16_e64 v163, v219, v163
	s_delay_alu instid0(VALU_DEP_4) | instskip(SKIP_2) | instid1(VALU_DEP_4)
	v_add_f16_e64 v138, v219, v162
	v_dual_mov_b32 v162, v30 :: v_dual_mov_b32 v51, v53
	v_mov_b32_e32 v52, v54
	v_add_f16_e64 v163, v165, v163
	v_mul_f16_e64 v165, 0xb836, v147
	v_add_f16_e64 v138, v164, v138
	v_dual_mov_b32 v164, v29 :: v_dual_mov_b32 v53, v55
	v_mov_b32_e32 v54, v56
	s_delay_alu instid0(VALU_DEP_4) | instskip(SKIP_3) | instid1(VALU_DEP_4)
	v_fma_f16 v166, 0xbacd, v78, v165
	v_fma_f16 v139, v78, 0xbacd, -v165
	v_mov_b32_e32 v165, v87
	v_dual_mov_b32 v55, v57 :: v_dual_mov_b32 v56, v58
	v_add_f16_e64 v97, v166, v97
	v_mul_f16_e64 v166, 0xbbdd, v113
	v_add_f16_e64 v89, v139, v89
	v_dual_mov_b32 v57, v59 :: v_dual_mov_b32 v58, v60
	v_mov_b32_e32 v59, v61
	s_delay_alu instid0(VALU_DEP_4) | instskip(SKIP_3) | instid1(VALU_DEP_4)
	v_fma_f16 v167, 0xb1e1, v83, v166
	v_fmac_f16_e64 v166, 0x31e1, v83
	v_dual_mov_b32 v60, v62 :: v_dual_mov_b32 v61, v63
	v_mov_b32_e32 v62, v64
	v_add_f16_e64 v163, v167, v163
	v_mul_f16_e64 v167, 0x39e9, v146
	v_add_f16_e64 v138, v166, v138
	v_dual_mov_b32 v166, v31 :: v_dual_mov_b32 v63, v65
	v_mov_b32_e32 v64, v66
	s_delay_alu instid0(VALU_DEP_4) | instskip(SKIP_2) | instid1(VALU_DEP_3)
	v_fma_f16 v168, 0xb964, v86, v167
	v_fmac_f16_e64 v167, 0x3964, v86
	v_mov_b32_e32 v65, v67
	v_add_f16_e64 v210, v168, v154
	v_mul_f16_e64 v168, 0x3a62, v149
	s_delay_alu instid0(VALU_DEP_4) | instskip(SKIP_2) | instid1(VALU_DEP_4)
	v_add_f16_e64 v133, v167, v133
	v_mov_b32_e32 v167, v193
	v_mov_b32_e32 v193, v69
	v_fma_f16 v169, 0xb8d2, v74, v168
	s_delay_alu instid0(VALU_DEP_1) | instskip(SKIP_1) | instid1(VALU_DEP_1)
	v_add_f16_e64 v97, v169, v97
	v_mul_f16_e64 v169, 0xb461, v118
	v_fma_f16 v170, 0xbbb2, v79, v169
	v_fmac_f16_e64 v169, 0x3bb2, v79
	s_delay_alu instid0(VALU_DEP_2) | instskip(SKIP_1) | instid1(VALU_DEP_3)
	v_add_f16_e64 v163, v170, v163
	v_mul_f16_e64 v170, 0x39e9, v122
	v_add_f16_e64 v138, v169, v138
	v_dual_mov_b32 v169, v194 :: v_dual_mov_b32 v194, v45
	s_delay_alu instid0(VALU_DEP_3) | instskip(SKIP_1) | instid1(VALU_DEP_2)
	v_fma_f16 v171, 0xb964, v82, v170
	v_fmac_f16_e64 v170, 0x3964, v82
	v_add_f16_e64 v163, v171, v163
	v_mul_f16_e64 v171, 0x3b76, v126
	s_delay_alu instid0(VALU_DEP_3) | instskip(SKIP_1) | instid1(VALU_DEP_3)
	v_add_f16_e64 v138, v170, v138
	v_dual_mov_b32 v170, v187 :: v_dual_mov_b32 v187, v37
	v_fma_f16 v172, 0x35c8, v84, v171
	v_fmac_f16_e64 v171, 0xb5c8, v84
	s_delay_alu instid0(VALU_DEP_2) | instskip(SKIP_1) | instid1(VALU_DEP_3)
	v_add_f16_e64 v163, v172, v163
	v_mul_f16_e64 v172, 0xba62, v131
	v_add_f16_e64 v138, v171, v138
	v_mov_b32_e32 v171, v191
	v_mov_b32_e32 v191, v70
	s_delay_alu instid0(VALU_DEP_4) | instskip(SKIP_2) | instid1(VALU_DEP_3)
	v_fma_f16 v173, 0xb8d2, v71, v172
	v_fma_f16 v139, v71, 0xb8d2, -v172
	v_dual_mov_b32 v172, v195 :: v_dual_mov_b32 v195, v33
	v_add_f16_e64 v98, v173, v98
	v_mul_f16_e64 v173, 0x3964, v152
	s_delay_alu instid0(VALU_DEP_1) | instskip(NEXT) | instid1(VALU_DEP_1)
	v_fma_f16 v174, 0x39e9, v72, v173
	v_add_f16_e64 v154, v174, v97
	v_mul_f16_e64 v174, 0x2de8, v136
	v_mov_b32_e32 v97, v200
	s_delay_alu instid0(VALU_DEP_2) | instskip(SKIP_1) | instid1(VALU_DEP_2)
	v_fma_f16 v175, 0x3bf7, v81, v174
	v_fmac_f16_e64 v174, 0xbbf7, v81
	v_add_f16_e64 v163, v175, v163
	v_mul_f16_e64 v175, 0x31e1, v137
	s_delay_alu instid0(VALU_DEP_3) | instskip(SKIP_2) | instid1(VALU_DEP_4)
	v_add_f16_e64 v138, v174, v138
	v_mov_b32_e32 v174, v130
	v_mov_b32_e32 v130, v227
	v_fma_f16 v176, 0xbbdd, v68, v175
	s_delay_alu instid0(VALU_DEP_1) | instskip(SKIP_1) | instid1(VALU_DEP_1)
	v_add_f16_e64 v98, v176, v98
	v_mul_f16_e64 v176, 0x3bb2, v141
	v_fma_f16 v177, 0xb461, v76, v176
	s_delay_alu instid0(VALU_DEP_1) | instskip(SKIP_1) | instid1(VALU_DEP_1)
	v_add_f16_e64 v98, v177, v98
	v_mul_f16_e64 v177, 0x3964, v143
	v_fma_f16 v178, 0x39e9, v77, v177
	s_delay_alu instid0(VALU_DEP_1) | instskip(SKIP_2) | instid1(VALU_DEP_2)
	v_add_f16_e64 v98, v178, v98
	v_mul_f16_e64 v178, 0x39e9, v109
	v_mul_f16_e32 v109, 0x3b76, v109
	v_fma_f16 v179, 0x3964, v75, v178
	v_fmac_f16_e64 v178, 0xb964, v75
	s_delay_alu instid0(VALU_DEP_2) | instskip(NEXT) | instid1(VALU_DEP_1)
	v_add_f16_e64 v179, v219, v179
	v_add_f16_e64 v179, v181, v179
	v_mul_f16_e64 v181, 0xb5c8, v147
	s_delay_alu instid0(VALU_DEP_1) | instskip(NEXT) | instid1(VALU_DEP_1)
	v_fma_f16 v182, 0x3b76, v78, v181
	v_add_f16_e64 v98, v182, v98
	v_mul_f16_e64 v182, 0xb8d2, v113
	v_mul_f16_e32 v113, 0x3722, v113
	s_delay_alu instid0(VALU_DEP_2) | instskip(SKIP_1) | instid1(VALU_DEP_2)
	v_fma_f16 v183, 0x3a62, v83, v182
	v_fmac_f16_e64 v182, 0xba62, v83
	v_add_f16_e64 v179, v183, v179
	v_mul_f16_e64 v183, 0xbacd, v146
	s_delay_alu instid0(VALU_DEP_1) | instskip(SKIP_1) | instid1(VALU_DEP_2)
	v_fma_f16 v184, 0x3836, v86, v183
	v_fmac_f16_e64 v183, 0xb836, v86
	v_add_f16_e64 v163, v184, v163
	v_mul_f16_e64 v184, 0xbbf7, v149
	s_delay_alu instid0(VALU_DEP_3) | instskip(SKIP_1) | instid1(VALU_DEP_3)
	v_add_f16_e64 v138, v183, v138
	v_mov_b32_e32 v183, v28
	v_fma_f16 v196, 0x2de8, v74, v184
	s_delay_alu instid0(VALU_DEP_1) | instskip(SKIP_2) | instid1(VALU_DEP_2)
	v_add_f16_e64 v98, v196, v98
	v_mul_f16_e64 v196, 0xbbdd, v118
	v_mul_f16_e32 v118, 0x2de8, v118
	v_fma_f16 v197, 0x31e1, v79, v196
	v_fmac_f16_e64 v196, 0xb1e1, v79
	s_delay_alu instid0(VALU_DEP_2) | instskip(SKIP_2) | instid1(VALU_DEP_2)
	v_add_f16_e64 v179, v197, v179
	v_mul_f16_e64 v197, 0xbacd, v122
	v_mul_f16_e32 v122, 0xb461, v122
	v_fma_f16 v198, 0xb836, v82, v197
	v_fmac_f16_e64 v197, 0x3836, v82
	s_delay_alu instid0(VALU_DEP_2) | instskip(SKIP_2) | instid1(VALU_DEP_2)
	;; [unrolled: 6-line block ×3, first 2 shown]
	v_add_f16_e64 v179, v199, v179
	v_mul_f16_e64 v199, 0xbbf7, v131
	v_mul_f16_e64 v131, 0xb964, v131
	v_fma_f16 v200, 0x2de8, v71, v199
	v_fma_f16 v85, v71, 0x2de8, -v199
	v_mov_b32_e32 v199, v36
	s_delay_alu instid0(VALU_DEP_3) | instskip(SKIP_1) | instid1(VALU_DEP_1)
	v_add_f16_e64 v99, v200, v99
	v_mul_f16_e64 v200, 0xb836, v152
	v_fma_f16 v201, 0xbacd, v72, v200
	s_delay_alu instid0(VALU_DEP_1) | instskip(SKIP_2) | instid1(VALU_DEP_2)
	v_add_f16_e64 v98, v201, v98
	v_mul_f16_e64 v201, 0x3722, v136
	v_mul_f16_e64 v136, 0xbacd, v136
	v_fma_f16 v202, 0xbb29, v81, v201
	v_fmac_f16_e64 v201, 0x3b29, v81
	s_delay_alu instid0(VALU_DEP_2) | instskip(SKIP_2) | instid1(VALU_DEP_2)
	v_add_f16_e64 v179, v202, v179
	v_mul_f16_e64 v202, 0xba62, v137
	v_mul_f16_e64 v137, 0xbb29, v137
	v_fma_f16 v203, 0xb8d2, v68, v202
	s_delay_alu instid0(VALU_DEP_1) | instskip(SKIP_2) | instid1(VALU_DEP_2)
	v_add_f16_e64 v99, v203, v99
	v_mul_f16_e64 v203, 0xb1e1, v141
	v_mul_f16_e64 v141, 0xbbf7, v141
	v_fma_f16 v204, 0xbbdd, v76, v203
	s_delay_alu instid0(VALU_DEP_1) | instskip(SKIP_2) | instid1(VALU_DEP_2)
	;; [unrolled: 5-line block ×3, first 2 shown]
	v_add_f16_e64 v99, v205, v99
	v_fma_f16 v205, 0x35c8, v75, v109
	v_fmac_f16_e32 v109, 0xb5c8, v75
	v_add_f16_e64 v205, v219, v205
	s_delay_alu instid0(VALU_DEP_2) | instskip(NEXT) | instid1(VALU_DEP_2)
	v_add_f16_e64 v109, v219, v109
	v_add_f16_e64 v205, v206, v205
	v_mul_f16_e64 v206, 0x3b76, v146
	v_mul_f16_e64 v146, 0xbbdd, v146
	s_delay_alu instid0(VALU_DEP_2) | instskip(SKIP_1) | instid1(VALU_DEP_2)
	v_fma_f16 v207, 0xb5c8, v86, v206
	v_fmac_f16_e64 v206, 0x35c8, v86
	v_add_f16_e64 v179, v207, v179
	v_mul_f16_e64 v207, 0x3bb2, v147
	v_mul_f16_e64 v147, 0xba62, v147
	s_delay_alu instid0(VALU_DEP_2) | instskip(NEXT) | instid1(VALU_DEP_1)
	v_fma_f16 v208, 0xb461, v78, v207
	v_add_f16_e64 v99, v208, v99
	v_fma_f16 v208, 0x3b29, v83, v113
	v_fmac_f16_e32 v113, 0xbb29, v83
	v_fma_f16 v83, v68, 0xb8d2, -v202
	v_mov_b32_e32 v202, v39
	s_delay_alu instid0(VALU_DEP_4) | instskip(SKIP_2) | instid1(VALU_DEP_2)
	v_add_f16_e64 v205, v208, v205
	v_fma_f16 v208, 0x3bf7, v79, v118
	v_fmac_f16_e32 v118, 0xbbf7, v79
	v_add_f16_e64 v205, v208, v205
	v_mul_f16_e64 v208, 0x3b29, v149
	v_fma_f16 v149, 0xbacd, v74, v116
	s_delay_alu instid0(VALU_DEP_2) | instskip(NEXT) | instid1(VALU_DEP_1)
	v_fma_f16 v209, 0x3722, v74, v208
	v_add_f16_e64 v99, v209, v99
	v_fma_f16 v209, 0x3bb2, v82, v122
	v_fmac_f16_e32 v122, 0xbbb2, v82
	v_pack_b32_f16 v82, v154, v210
	s_delay_alu instid0(VALU_DEP_3) | instskip(SKIP_3) | instid1(VALU_DEP_3)
	v_add_f16_e64 v205, v209, v205
	v_add_f16_e64 v209, v222, v219
	v_mul_f16_e64 v222, 0x35c8, v152
	v_fma_f16 v152, 0xbbdd, v72, v120
	v_add_f16_e64 v209, v224, v209
	s_delay_alu instid0(VALU_DEP_3) | instskip(NEXT) | instid1(VALU_DEP_2)
	v_fma_f16 v224, 0x3b76, v72, v222
	v_add_f16_e64 v209, v220, v209
	v_fma_f16 v220, 0x3a62, v84, v126
	s_delay_alu instid0(VALU_DEP_3) | instskip(SKIP_1) | instid1(VALU_DEP_4)
	v_add_f16_e64 v99, v224, v99
	v_fmac_f16_e32 v126, 0xba62, v84
	v_add_f16_e64 v209, v21, v209
	s_delay_alu instid0(VALU_DEP_4) | instskip(SKIP_2) | instid1(VALU_DEP_4)
	v_add_f16_e64 v205, v220, v205
	v_fma_f16 v220, 0x39e9, v71, v131
	v_fma_f16 v71, v71, 0x39e9, -v131
	v_add_f16_e64 v209, v19, v209
	s_delay_alu instid0(VALU_DEP_3) | instskip(SKIP_2) | instid1(VALU_DEP_4)
	v_add_f16_e64 v100, v220, v100
	v_fma_f16 v220, 0x3836, v81, v136
	v_fmac_f16_e64 v136, 0xb836, v81
	v_add_f16_e64 v209, v221, v209
	s_delay_alu instid0(VALU_DEP_3) | instskip(SKIP_1) | instid1(VALU_DEP_3)
	v_add_f16_e64 v205, v220, v205
	v_fma_f16 v220, 0x3722, v68, v137
	v_add_f16_e64 v209, v20, v209
	s_delay_alu instid0(VALU_DEP_2) | instskip(NEXT) | instid1(VALU_DEP_2)
	v_add_f16_e64 v100, v220, v100
	v_add_f16_e64 v209, v18, v209
	scratch_load_b32 v18, off, off offset:156 th:TH_LOAD_LU ; 4-byte Folded Reload
	v_fma_f16 v220, 0x2de8, v76, v141
	v_add_f16_e64 v209, v223, v209
	s_delay_alu instid0(VALU_DEP_2) | instskip(SKIP_1) | instid1(VALU_DEP_3)
	v_add_f16_e64 v100, v220, v100
	v_fma_f16 v220, 0xb461, v77, v143
	v_add_f16_e64 v209, v22, v209
	s_delay_alu instid0(VALU_DEP_2) | instskip(SKIP_1) | instid1(VALU_DEP_3)
	v_add_f16_e64 v100, v220, v100
	v_fma_f16 v220, 0x31e1, v86, v146
	v_add_f16_e64 v209, v23, v209
	v_fmac_f16_e64 v146, 0xb1e1, v86
	s_delay_alu instid0(VALU_DEP_3) | instskip(SKIP_1) | instid1(VALU_DEP_1)
	v_add_f16_e64 v205, v220, v205
	v_fma_f16 v220, 0xb8d2, v78, v147
	v_add_f16_e64 v100, v220, v100
	s_delay_alu instid0(VALU_DEP_1) | instskip(SKIP_2) | instid1(VALU_DEP_3)
	v_add_f16_e64 v100, v149, v100
	v_add_f16_e64 v149, v225, v209
	v_mov_b32_e32 v209, v88
	v_add_f16_e64 v100, v152, v100
	s_delay_alu instid0(VALU_DEP_3) | instskip(NEXT) | instid1(VALU_DEP_1)
	v_add_f16_e64 v149, v25, v149
	v_add_f16_e64 v124, v24, v149
	s_delay_alu instid0(VALU_DEP_1) | instskip(NEXT) | instid1(VALU_DEP_1)
	v_add_f16_e64 v124, v226, v124
	v_add_f16_e64 v124, v140, v124
	v_fma_f16 v140, v74, 0xb8d2, -v168
	v_mov_b32_e32 v168, v186
	v_mov_b32_e32 v186, v92
	s_delay_alu instid0(VALU_DEP_3)
	v_add_f16_e64 v89, v140, v89
	v_fma_f16 v140, v68, 0xbbdd, -v175
	v_fma_f16 v68, v68, 0x3722, -v137
	v_mov_b32_e32 v175, v228
	s_wait_loadcnt 0x0
	v_add_f16_e64 v87, v139, v18
	scratch_load_b32 v18, off, off offset:148 th:TH_LOAD_LU ; 4-byte Folded Reload
	v_add_f16_e64 v139, v219, v178
	v_mov_b32_e32 v178, v231
	v_add_f16_e64 v87, v140, v87
	v_fma_f16 v140, v76, 0xb461, -v176
	s_delay_alu instid0(VALU_DEP_4) | instskip(SKIP_2) | instid1(VALU_DEP_4)
	v_add_f16_e64 v139, v180, v139
	v_mov_b32_e32 v180, v233
	v_mov_b32_e32 v176, v229
	v_add_f16_e64 v87, v140, v87
	v_fma_f16 v140, v77, 0x39e9, -v177
	v_add_f16_e64 v139, v182, v139
	v_dual_mov_b32 v182, v26 :: v_dual_mov_b32 v177, v230
	s_delay_alu instid0(VALU_DEP_3) | instskip(SKIP_1) | instid1(VALU_DEP_4)
	v_add_f16_e64 v87, v140, v87
	v_fma_f16 v140, v72, 0x39e9, -v173
	v_add_f16_e64 v139, v196, v139
	v_dual_mov_b32 v196, v32 :: v_dual_mov_b32 v173, v188
	v_mov_b32_e32 v188, v93
	s_delay_alu instid0(VALU_DEP_4)
	v_add_f16_e64 v89, v140, v89
	v_fma_f16 v140, v78, 0x3b76, -v181
	v_add_f16_e64 v139, v197, v139
	v_mov_b32_e32 v197, v34
	v_mov_b32_e32 v181, v234
	v_pack_b32_f16 v70, v89, v133
	v_add_f16_e64 v87, v140, v87
	v_fma_f16 v140, v74, 0x2de8, -v184
	v_add_f16_e64 v139, v198, v139
	v_mov_b32_e32 v198, v35
	v_mov_b32_e32 v184, v27
	s_delay_alu instid0(VALU_DEP_4) | instskip(NEXT) | instid1(VALU_DEP_4)
	v_add_f16_e64 v87, v140, v87
	v_add_f16_e64 v75, v201, v139
	v_mov_b32_e32 v201, v38
	s_delay_alu instid0(VALU_DEP_2)
	v_add_f16_e64 v75, v206, v75
	v_mov_b32_e32 v206, v73
	s_wait_loadcnt 0x0
	v_add_f16_e32 v80, v85, v18
	scratch_load_b32 v18, off, off offset:144 th:TH_LOAD_LU ; 4-byte Folded Reload
	v_add_f16_e32 v85, v111, v109
	v_add_f16_e32 v80, v83, v80
	s_delay_alu instid0(VALU_DEP_2) | instskip(NEXT) | instid1(VALU_DEP_1)
	v_add_f16_e32 v83, v113, v85
	v_add_f16_e32 v79, v118, v83
	s_wait_loadcnt 0x0
	v_add_f16_e32 v69, v71, v18
	v_fma_f16 v71, v76, 0xbbdd, -v203
	v_mov_b32_e32 v203, v40
	s_delay_alu instid0(VALU_DEP_3) | instskip(SKIP_1) | instid1(VALU_DEP_4)
	v_add_f16_e32 v68, v68, v69
	v_fma_f16 v69, v76, 0x2de8, -v141
	v_add_f16_e32 v71, v71, v80
	v_fma_f16 v76, v77, 0xbacd, -v204
	v_pack_b32_f16 v80, v99, v179
	v_mov_b32_e32 v179, v232
	v_add_f16_e32 v68, v69, v68
	v_fma_f16 v69, v77, 0xb461, -v143
	v_add_f16_e32 v71, v76, v71
	v_fma_f16 v77, v78, 0xb461, -v207
	v_add_f16_e32 v76, v122, v79
	v_pack_b32_f16 v79, v98, v163
	v_add_f16_e32 v68, v69, v68
	v_fma_f16 v69, v78, 0xb8d2, -v147
	v_add_f16_e32 v71, v77, v71
	v_fma_f16 v77, v74, 0x3722, -v208
	v_fma_f16 v78, v72, 0x3b76, -v222
	scratch_load_b32 v163, off, off offset:136 ; 4-byte Folded Reload
	v_add_f16_e32 v68, v69, v68
	v_fma_f16 v69, v74, 0xbacd, -v116
	v_add_f16_e32 v71, v77, v71
	v_fma_f16 v77, v72, 0xbacd, -v200
	v_mov_b32_e32 v208, v91
	v_add_f16_e32 v76, v126, v76
	v_add_f16_e32 v68, v69, v68
	v_fma_f16 v69, v72, 0xbbdd, -v120
	s_clause 0x2
	scratch_load_b32 v72, off, off offset:120 th:TH_LOAD_LU
	scratch_load_b32 v18, off, off offset:192 th:TH_LOAD_LU
	;; [unrolled: 1-line block ×3, first 2 shown]
	v_mov_b32_e32 v207, v90
	v_add_f16_e32 v74, v77, v87
	v_add_f16_e32 v71, v78, v71
	v_pack_b32_f16 v77, v100, v205
	v_pack_b32_f16 v78, v107, v124
	v_add_f16_e32 v68, v69, v68
	v_mov_b32_e32 v205, v96
	v_add_f16_e64 v76, v136, v76
	v_mov_b32_e32 v204, v41
	v_mov_b32_e32 v200, v97
	v_pack_b32_f16 v71, v71, v75
	v_pack_b32_f16 v74, v74, v138
	v_add_f16_e64 v76, v146, v76
	s_delay_alu instid0(VALU_DEP_1)
	v_pack_b32_f16 v68, v68, v76
	s_wait_loadcnt 0x2
	v_lshlrev_b32_e32 v72, 2, v72
	s_wait_loadcnt 0x0
	v_pack_b32_f16 v81, v19, v18
	s_clause 0x3
	scratch_load_b32 v154, off, off offset:132
	scratch_load_b32 v210, off, off offset:128
	scratch_load_b32 v18, off, off offset:176 th:TH_LOAD_LU
	scratch_load_b32 v19, off, off offset:180 th:TH_LOAD_LU
	s_wait_loadcnt 0x0
	v_pack_b32_f16 v83, v19, v18
	s_clause 0x1
	scratch_load_b32 v18, off, off offset:184 th:TH_LOAD_LU
	scratch_load_b32 v19, off, off offset:188 th:TH_LOAD_LU
	s_wait_loadcnt 0x0
	v_pack_b32_f16 v84, v19, v18
	ds_store_2addr_b32 v72, v78, v77 offset1:1
	ds_store_2addr_b32 v72, v80, v79 offset0:2 offset1:3
	ds_store_2addr_b32 v72, v82, v81 offset0:4 offset1:5
	;; [unrolled: 1-line block ×3, first 2 shown]
	s_clause 0x1
	scratch_load_b32 v18, off, off offset:160 th:TH_LOAD_LU
	scratch_load_b32 v19, off, off offset:164 th:TH_LOAD_LU
	v_pack_b32_f16 v77, v103, v94
	v_pack_b32_f16 v78, v106, v128
	s_wait_loadcnt 0x0
	v_pack_b32_f16 v69, v19, v18
	s_clause 0x2
	scratch_load_b32 v18, off, off offset:168 th:TH_LOAD_LU
	scratch_load_b32 v19, off, off offset:172 th:TH_LOAD_LU
	scratch_load_b32 v66, off, off offset:124
	s_wait_loadcnt 0x1
	v_pack_b32_f16 v73, v19, v18
	s_clause 0x1
	scratch_load_b32 v18, off, off offset:140 th:TH_LOAD_LU
	scratch_load_b32 v19, off, off offset:152 th:TH_LOAD_LU
	s_wait_loadcnt 0x0
	v_pack_b32_f16 v67, v19, v18
	ds_store_2addr_b32 v72, v73, v69 offset0:8 offset1:9
	ds_store_2addr_b32 v72, v67, v77 offset0:10 offset1:11
	;; [unrolled: 1-line block ×4, first 2 shown]
	ds_store_b32 v72, v68 offset:64
.LBB0_13:
	s_wait_alu 0xfffe
	s_or_b32 exec_lo, exec_lo, s0
	v_add_nc_u32_e32 v80, 0x1000, v102
	v_add_nc_u32_e32 v82, 0x800, v102
	;; [unrolled: 1-line block ×6, first 2 shown]
	global_wb scope:SCOPE_SE
	s_wait_storecnt_dscnt 0x0
	s_barrier_signal -1
	s_barrier_wait -1
	global_inv scope:SCOPE_SE
	ds_load_2addr_b32 v[71:72], v102 offset1:51
	ds_load_2addr_b32 v[67:68], v83 offset0:126 offset1:177
	ds_load_2addr_b32 v[98:99], v80 offset0:98 offset1:149
	ds_load_2addr_b32 v[100:101], v82 offset0:100 offset1:151
	ds_load_2addr_b32 v[69:70], v102 offset0:102 offset1:153
	ds_load_2addr_b32 v[139:140], v80 offset0:200 offset1:251
	ds_load_2addr_b32 v[73:74], v102 offset0:204 offset1:255
	ds_load_2addr_b32 v[141:142], v82 offset0:202 offset1:253
	ds_load_2addr_b32 v[219:220], v84 offset0:46 offset1:97
	ds_load_2addr_b32 v[221:222], v81 offset0:48 offset1:99
	ds_load_2addr_b32 v[75:76], v86 offset0:50 offset1:101
	ds_load_2addr_b32 v[223:224], v84 offset0:148 offset1:199
	ds_load_2addr_b32 v[225:226], v81 offset0:150 offset1:201
	s_clause 0x1
	scratch_load_b64 v[19:20], off, off offset:56 th:TH_LOAD_LU
	scratch_load_b64 v[21:22], off, off offset:40 th:TH_LOAD_LU
	v_add_nc_u32_e32 v79, 0x1600, v102
	v_add_nc_u32_e32 v85, 0xe00, v102
	ds_load_b32 v136, v102 offset:6528
	ds_load_2addr_b32 v[77:78], v86 offset0:152 offset1:203
	s_mov_b32 s8, 0x87d568ce
	ds_load_2addr_b32 v[227:228], v79 offset0:122 offset1:173
	ds_load_2addr_b32 v[229:230], v85 offset0:124 offset1:175
	s_mov_b32 s9, 0x3f437851
	scratch_load_b64 v[25:26], off, off offset:92 th:TH_LOAD_LU ; 8-byte Folded Reload
	s_wait_dscnt 0x10
	v_lshrrev_b32_e32 v94, 16, v71
	s_wait_dscnt 0xf
	v_lshrrev_b32_e32 v103, 16, v68
	;; [unrolled: 2-line block ×4, first 2 shown]
	v_lshrrev_b32_e32 v109, 16, v99
	v_lshrrev_b32_e32 v111, 16, v101
	s_wait_dscnt 0xb
	v_lshrrev_b32_e32 v113, 16, v139
	s_wait_dscnt 0x9
	v_lshrrev_b32_e32 v116, 16, v141
	v_lshrrev_b32_e32 v118, 16, v140
	v_lshrrev_b32_e32 v120, 16, v142
	s_wait_dscnt 0x8
	v_lshrrev_b32_e32 v122, 16, v219
	s_wait_dscnt 0x7
	v_lshrrev_b32_e32 v124, 16, v221
	;; [unrolled: 6-line block ×4, first 2 shown]
	v_lshrrev_b32_e32 v146, 16, v228
	v_lshrrev_b32_e32 v88, 16, v72
	;; [unrolled: 1-line block ×11, first 2 shown]
	s_wait_loadcnt 0x2
	v_lshrrev_b32_e32 v147, 16, v19
	v_lshrrev_b32_e32 v149, 16, v20
	s_delay_alu instid0(VALU_DEP_2) | instskip(NEXT) | instid1(VALU_DEP_2)
	v_mul_f16_e64 v145, v147, v68
	v_mul_f16_e64 v148, v149, v98
	;; [unrolled: 1-line block ×3, first 2 shown]
	s_delay_alu instid0(VALU_DEP_3) | instskip(SKIP_1) | instid1(VALU_DEP_4)
	v_fma_f16 v103, v19, v103, -v145
	v_mul_f16_e64 v145, v149, v106
	v_fma_f16 v31, v20, v106, -v148
	s_wait_loadcnt 0x1
	v_lshrrev_b32_e32 v106, 16, v21
	v_fmac_f16_e64 v147, v19, v68
	v_lshrrev_b32_e32 v148, 16, v22
	v_fmac_f16_e64 v145, v20, v98
	v_lshrrev_b32_e32 v149, 16, v230
	v_mul_f16_e32 v68, v106, v107
	v_mul_f16_e32 v32, v106, v100
	v_mul_f16_e64 v106, v148, v109
	v_lshrrev_b32_e32 v98, 16, v136
	s_wait_loadcnt 0x0
	v_lshrrev_b32_e32 v18, 16, v25
	v_fmac_f16_e32 v68, v21, v100
	v_fma_f16 v27, v21, v107, -v32
	scratch_load_b64 v[20:21], off, off offset:24 th:TH_LOAD_LU ; 8-byte Folded Reload
	v_mul_f16_e64 v100, v148, v99
	v_fmac_f16_e32 v106, v22, v99
	s_delay_alu instid0(VALU_DEP_2) | instskip(SKIP_2) | instid1(VALU_DEP_1)
	v_fma_f16 v28, v22, v109, -v100
	s_wait_loadcnt 0x0
	v_lshrrev_b32_e32 v107, 16, v20
	v_mul_f16_e32 v32, v107, v111
	v_mul_f16_e32 v99, v107, v101
	v_lshrrev_b32_e32 v107, 16, v21
	s_delay_alu instid0(VALU_DEP_3) | instskip(NEXT) | instid1(VALU_DEP_3)
	v_fmac_f16_e32 v32, v20, v101
	v_fma_f16 v23, v20, v111, -v99
	scratch_load_b64 v[19:20], off, off offset:8 th:TH_LOAD_LU ; 8-byte Folded Reload
	v_mul_f16_e32 v100, v107, v113
	v_mul_f16_e64 v101, v107, v139
	v_mul_f16_e64 v111, v170, v142
	s_delay_alu instid0(VALU_DEP_3) | instskip(NEXT) | instid1(VALU_DEP_3)
	v_fmac_f16_e64 v100, v21, v139
	v_fma_f16 v24, v21, v113, -v101
	scratch_load_b64 v[21:22], off, off offset:84 th:TH_LOAD_LU ; 8-byte Folded Reload
	v_mul_f16_e64 v113, v159, v219
	v_mul_f16_e64 v139, v154, v136
	s_wait_loadcnt 0x1
	v_lshrrev_b32_e32 v107, 16, v19
	v_lshrrev_b32_e32 v109, 16, v20
	s_delay_alu instid0(VALU_DEP_2) | instskip(SKIP_1) | instid1(VALU_DEP_3)
	v_mul_f16_e32 v99, v107, v116
	v_mul_f16_e64 v107, v107, v141
	v_mul_f16_e32 v101, v109, v118
	v_mul_f16_e64 v109, v109, v140
	s_wait_loadcnt 0x0
	v_fma_f16 v37, v21, v120, -v111
	v_fmac_f16_e64 v99, v19, v141
	v_fma_f16 v19, v19, v116, -v107
	v_mul_f16_e64 v107, v170, v120
	v_fmac_f16_e64 v101, v20, v140
	v_fma_f16 v20, v20, v118, -v109
	v_mul_f16_e64 v109, v159, v122
	v_fma_f16 v38, v22, v122, -v113
	v_fmac_f16_e64 v107, v21, v142
	v_mul_f16_e64 v116, v18, v221
	v_mul_f16_e64 v118, v173, v220
	v_fmac_f16_e64 v109, v22, v219
	scratch_load_b64 v[21:22], off, off offset:76 th:TH_LOAD_LU ; 8-byte Folded Reload
	v_mul_f16_e64 v120, v168, v222
	v_fma_f16 v39, v25, v124, -v116
	v_mul_f16_e64 v116, v168, v128
	v_fma_f16 v40, v26, v126, -v118
	v_mul_f16_e64 v118, v166, v131
	v_mul_f16_e64 v122, v166, v223
	v_mul_f16_e32 v111, v18, v124
	v_mul_f16_e64 v113, v173, v126
	v_mul_f16_e64 v124, v164, v225
	;; [unrolled: 1-line block ×3, first 2 shown]
	scratch_load_b32 v18, off, off offset:108 th:TH_LOAD_LU ; 4-byte Folded Reload
	v_fmac_f16_e64 v111, v25, v221
	v_fmac_f16_e64 v113, v26, v220
	v_add_f16_e64 v140, v72, v68
	s_delay_alu instid0(VALU_DEP_1)
	v_add_f16_e64 v140, v140, v106
	s_wait_loadcnt 0x1
	v_fmac_f16_e64 v116, v21, v222
	v_fma_f16 v35, v21, v128, -v120
	v_fmac_f16_e64 v118, v22, v223
	v_fma_f16 v36, v22, v131, -v122
	scratch_load_b64 v[21:22], off, off offset:64 th:TH_LOAD_LU ; 8-byte Folded Reload
	v_mul_f16_e64 v120, v164, v133
	v_mul_f16_e64 v122, v163, v137
	;; [unrolled: 1-line block ×4, first 2 shown]
	s_wait_loadcnt 0x0
	v_fmac_f16_e64 v120, v21, v225
	v_fma_f16 v33, v21, v133, -v124
	v_fmac_f16_e64 v122, v22, v224
	v_fma_f16 v34, v22, v137, -v126
	scratch_load_b64 v[21:22], off, off offset:48 th:TH_LOAD_LU ; 8-byte Folded Reload
	v_mul_f16_e64 v124, v161, v138
	v_mul_f16_e64 v126, v160, v143
	;; [unrolled: 1-line block ×3, first 2 shown]
	s_wait_loadcnt 0x0
	s_delay_alu instid0(VALU_DEP_3)
	v_fmac_f16_e64 v124, v21, v226
	v_fma_f16 v29, v21, v138, -v128
	v_fmac_f16_e64 v126, v22, v227
	v_fma_f16 v30, v22, v143, -v131
	scratch_load_b64 v[21:22], off, off offset:32 th:TH_LOAD_LU ; 8-byte Folded Reload
	v_mul_f16_e64 v128, v18, v144
	v_mul_f16_e64 v133, v18, v229
	;; [unrolled: 1-line block ×4, first 2 shown]
	s_wait_loadcnt 0x0
	v_fmac_f16_e64 v128, v21, v229
	v_fma_f16 v25, v21, v144, -v133
	v_fmac_f16_e64 v131, v22, v228
	v_fma_f16 v26, v22, v146, -v137
	scratch_load_b64 v[21:22], off, off offset:16 th:TH_LOAD_LU ; 8-byte Folded Reload
	v_mul_f16_e64 v133, v155, v149
	v_mul_f16_e64 v137, v154, v98
	global_wb scope:SCOPE_SE
	s_wait_loadcnt 0x0
	s_barrier_signal -1
	s_barrier_wait -1
	global_inv scope:SCOPE_SE
	v_fmac_f16_e64 v133, v21, v230
	v_fma_f16 v21, v21, v149, -v138
	v_add_f16_e64 v138, v147, v145
	v_fmac_f16_e64 v137, v22, v136
	v_fma_f16 v22, v22, v98, -v139
	v_add_f16_e32 v98, v103, v31
	v_add_f16_e64 v136, v71, v147
	v_fma_f16 v71, -0.5, v138, v71
	v_sub_f16_e64 v138, v103, v31
	v_add_f16_e32 v103, v94, v103
	v_fmac_f16_e32 v94, -0.5, v98
	v_sub_f16_e64 v98, v147, v145
	v_add_f16_e64 v136, v136, v145
	v_fma_f16 v139, 0xbaee, v138, v71
	v_add_f16_e32 v31, v103, v31
	v_add_f16_e32 v103, v68, v106
	v_fmac_f16_e64 v71, 0x3aee, v138
	v_fma_f16 v138, 0x3aee, v98, v94
	v_fmac_f16_e32 v94, 0xbaee, v98
	v_add_f16_e32 v98, v27, v28
	v_fmac_f16_e32 v72, -0.5, v103
	v_sub_f16_e32 v103, v27, v28
	v_add_f16_e32 v27, v88, v27
	v_sub_f16_e32 v68, v68, v106
	v_fmac_f16_e32 v88, -0.5, v98
	v_add_f16_e32 v106, v69, v32
	v_fmamk_f16 v98, v103, 0xbaee, v72
	v_add_f16_e32 v27, v27, v28
	v_add_f16_e32 v28, v32, v100
	v_fmac_f16_e32 v72, 0x3aee, v103
	v_fmamk_f16 v103, v68, 0x3aee, v88
	v_fmac_f16_e32 v88, 0xbaee, v68
	v_add_f16_e32 v68, v23, v24
	v_fma_f16 v28, -0.5, v28, v69
	v_sub_f16_e32 v69, v23, v24
	v_add_f16_e32 v23, v89, v23
	v_sub_f16_e32 v32, v32, v100
	v_fmac_f16_e32 v89, -0.5, v68
	v_add_f16_e32 v106, v106, v100
	v_fmamk_f16 v68, v69, 0xbaee, v28
	v_add_f16_e32 v23, v23, v24
	v_add_f16_e32 v24, v99, v101
	v_fmac_f16_e32 v28, 0x3aee, v69
	v_fmamk_f16 v69, v32, 0x3aee, v89
	v_fmac_f16_e32 v89, 0xbaee, v32
	v_add_f16_e32 v32, v19, v20
	v_add_f16_e32 v100, v70, v99
	v_fmac_f16_e32 v70, -0.5, v24
	v_sub_f16_e32 v24, v19, v20
	v_add_f16_e32 v19, v97, v19
	v_fmac_f16_e32 v97, -0.5, v32
	v_sub_f16_e32 v32, v99, v101
	v_add_f16_e32 v100, v100, v101
	v_fmamk_f16 v99, v24, 0xbaee, v70
	v_add_f16_e32 v19, v19, v20
	v_add_f16_e32 v20, v107, v109
	v_fmac_f16_e32 v70, 0x3aee, v24
	v_fmamk_f16 v24, v32, 0x3aee, v97
	v_fmac_f16_e32 v97, 0xbaee, v32
	v_add_f16_e32 v32, v37, v38
	v_add_f16_e32 v101, v73, v107
	v_fma_f16 v20, -0.5, v20, v73
	v_sub_f16_e32 v73, v37, v38
	v_add_f16_e32 v37, v96, v37
	v_fmac_f16_e32 v96, -0.5, v32
	v_sub_f16_e32 v32, v107, v109
	v_add_f16_e32 v101, v101, v109
	v_fmamk_f16 v107, v73, 0xbaee, v20
	v_add_f16_e32 v37, v37, v38
	v_add_f16_e32 v38, v111, v113
	v_fmac_f16_e32 v20, 0x3aee, v73
	v_fmamk_f16 v73, v32, 0x3aee, v96
	v_fmac_f16_e32 v96, 0xbaee, v32
	v_add_f16_e32 v32, v39, v40
	v_add_f16_e32 v109, v74, v111
	v_fmac_f16_e32 v74, -0.5, v38
	v_sub_f16_e32 v38, v39, v40
	v_add_f16_e32 v39, v95, v39
	v_fmac_f16_e32 v95, -0.5, v32
	v_sub_f16_e32 v32, v111, v113
	v_add_f16_e32 v109, v109, v113
	v_fmamk_f16 v111, v38, 0xbaee, v74
	v_fmac_f16_e32 v74, 0x3aee, v38
	v_add_f16_e32 v38, v39, v40
	v_add_f16_e32 v39, v116, v118
	v_fmamk_f16 v40, v32, 0x3aee, v95
	v_fmac_f16_e32 v95, 0xbaee, v32
	v_add_f16_e32 v32, v35, v36
	v_add_f16_e32 v113, v75, v116
	v_fma_f16 v39, -0.5, v39, v75
	v_sub_f16_e32 v75, v35, v36
	v_add_f16_e32 v35, v93, v35
	v_fmac_f16_e32 v93, -0.5, v32
	v_sub_f16_e32 v32, v116, v118
	v_add_f16_e32 v113, v113, v118
	v_fmamk_f16 v116, v75, 0xbaee, v39
	v_add_f16_e32 v35, v35, v36
	v_add_f16_e32 v36, v120, v122
	v_fmac_f16_e32 v39, 0x3aee, v75
	v_fmamk_f16 v75, v32, 0x3aee, v93
	v_fmac_f16_e32 v93, 0xbaee, v32
	v_add_f16_e32 v32, v33, v34
	v_add_f16_e32 v118, v76, v120
	v_fmac_f16_e32 v76, -0.5, v36
	v_sub_f16_e32 v36, v33, v34
	v_add_f16_e32 v33, v91, v33
	v_fmac_f16_e32 v91, -0.5, v32
	v_sub_f16_e32 v32, v120, v122
	v_add_f16_e32 v118, v118, v122
	v_fmamk_f16 v120, v36, 0xbaee, v76
	v_add_f16_e32 v33, v33, v34
	v_add_f16_e32 v34, v124, v126
	v_fmac_f16_e32 v76, 0x3aee, v36
	v_fmamk_f16 v36, v32, 0x3aee, v91
	v_fmac_f16_e32 v91, 0xbaee, v32
	v_add_f16_e32 v32, v29, v30
	v_add_f16_e32 v122, v77, v124
	v_fma_f16 v34, -0.5, v34, v77
	v_sub_f16_e32 v77, v29, v30
	v_add_f16_e32 v29, v90, v29
	v_fmac_f16_e32 v90, -0.5, v32
	v_sub_f16_e32 v32, v124, v126
	v_add_f16_e32 v122, v122, v126
	v_fmamk_f16 v124, v77, 0xbaee, v34
	v_add_f16_e32 v29, v29, v30
	v_add_f16_e64 v30, v128, v131
	v_fmac_f16_e32 v34, 0x3aee, v77
	v_fmamk_f16 v77, v32, 0x3aee, v90
	v_fmac_f16_e32 v90, 0xbaee, v32
	v_add_f16_e32 v32, v25, v26
	v_add_f16_e64 v126, v78, v128
	v_fmac_f16_e32 v78, -0.5, v30
	v_sub_f16_e32 v30, v25, v26
	v_add_f16_e32 v25, v87, v25
	v_fmac_f16_e32 v87, -0.5, v32
	v_sub_f16_e64 v32, v128, v131
	v_add_f16_e64 v126, v126, v131
	v_fma_f16 v128, 0xbaee, v30, v78
	v_add_f16_e32 v25, v25, v26
	v_add_f16_e64 v26, v133, v137
	v_fmac_f16_e32 v78, 0x3aee, v30
	v_fmamk_f16 v30, v32, 0x3aee, v87
	v_fmac_f16_e32 v87, 0xbaee, v32
	v_add_f16_e32 v32, v21, v22
	v_add_f16_e64 v131, v67, v133
	v_fmac_f16_e32 v67, -0.5, v26
	v_sub_f16_e32 v26, v21, v22
	v_add_f16_e32 v21, v92, v21
	v_fmac_f16_e32 v92, -0.5, v32
	v_sub_f16_e64 v32, v133, v137
	v_pack_b32_f16 v23, v106, v23
	v_fma_f16 v133, 0xbaee, v26, v67
	v_fmac_f16_e32 v67, 0x3aee, v26
	v_pack_b32_f16 v26, v136, v31
	v_pack_b32_f16 v31, v139, v138
	v_add_f16_e32 v21, v21, v22
	v_fmamk_f16 v22, v32, 0x3aee, v92
	v_fmac_f16_e32 v92, 0xbaee, v32
	v_pack_b32_f16 v32, v71, v94
	ds_store_2addr_b32 v158, v26, v31 offset1:17
	ds_store_b32 v158, v32 offset:136
	v_pack_b32_f16 v26, v140, v27
	v_pack_b32_f16 v27, v98, v103
	;; [unrolled: 1-line block ×7, first 2 shown]
	ds_store_2addr_b32 v157, v26, v27 offset1:17
	ds_store_b32 v157, v31 offset:136
	ds_store_2addr_b32 v171, v23, v32 offset1:17
	ds_store_b32 v171, v28 offset:136
	ds_store_2addr_b32 v162, v19, v24 offset1:17
	v_pack_b32_f16 v19, v70, v97
	v_pack_b32_f16 v23, v101, v37
	;; [unrolled: 1-line block ×7, first 2 shown]
	ds_store_b32 v162, v19 offset:136
	ds_store_2addr_b32 v165, v23, v24 offset1:17
	ds_store_b32 v165, v20 offset:136
	ds_store_2addr_b32 v169, v26, v27 offset1:17
	ds_store_b32 v169, v28 offset:136
	v_pack_b32_f16 v19, v113, v35
	v_pack_b32_f16 v20, v116, v75
	;; [unrolled: 1-line block ×8, first 2 shown]
	ds_store_2addr_b32 v167, v19, v20 offset1:17
	ds_store_b32 v167, v23 offset:136
	ds_store_2addr_b32 v174, v24, v26 offset1:17
	ds_store_b32 v174, v27 offset:136
	ds_store_2addr_b32 v172, v28, v29 offset1:17
	v_pack_b32_f16 v19, v34, v90
	v_pack_b32_f16 v20, v126, v25
	;; [unrolled: 1-line block ×4, first 2 shown]
	ds_store_b32 v172, v19 offset:136
	ds_store_2addr_b32 v176, v20, v23 offset1:17
	ds_store_b32 v176, v24 offset:136
	scratch_load_b32 v18, off, off offset:72 th:TH_LOAD_LU ; 4-byte Folded Reload
	v_add_f16_e64 v131, v131, v137
	v_pack_b32_f16 v22, v133, v22
	v_pack_b32_f16 v25, v67, v92
	s_delay_alu instid0(VALU_DEP_3)
	v_pack_b32_f16 v21, v131, v21
	s_wait_loadcnt 0x0
	ds_store_2addr_b32 v18, v21, v22 offset1:17
	ds_store_b32 v18, v25 offset:136
	global_wb scope:SCOPE_SE
	s_wait_dscnt 0x0
	s_barrier_signal -1
	s_barrier_wait -1
	global_inv scope:SCOPE_SE
	ds_load_2addr_b32 v[21:22], v102 offset1:51
	ds_load_2addr_b32 v[19:20], v102 offset0:102 offset1:153
	ds_load_2addr_b32 v[24:25], v86 offset0:50 offset1:101
	;; [unrolled: 1-line block ×13, first 2 shown]
	scratch_load_b64 v[41:42], off, off offset:100 th:TH_LOAD_LU ; 8-byte Folded Reload
	ds_load_2addr_b32 v[143:144], v80 offset0:98 offset1:149
	ds_load_2addr_b32 v[145:146], v84 offset0:148 offset1:199
	ds_load_b32 v103, v102 offset:6528
	global_wb scope:SCOPE_SE
	s_wait_loadcnt_dscnt 0x0
	s_barrier_signal -1
	v_lshrrev_b32_e32 v101, 16, v21
	v_lshrrev_b32_e32 v26, 16, v20
	;; [unrolled: 1-line block ×5, first 2 shown]
	v_mul_f16_e64 v31, v196, v20
	v_mul_f16_e64 v131, v196, v26
	;; [unrolled: 1-line block ×4, first 2 shown]
	v_lshrrev_b32_e32 v30, 16, v37
	v_lshrrev_b32_e32 v67, 16, v70
	v_fmac_f16_e64 v131, v12, v20
	v_mul_f16_e64 v20, v193, v33
	v_mul_f16_e64 v89, v194, v24
	v_fma_f16 v137, v12, v26, -v31
	v_fmac_f16_e64 v136, v13, v24
	v_mul_f16_e64 v31, v192, v29
	v_fmac_f16_e64 v138, v14, v33
	v_mul_f16_e64 v24, v192, v34
	v_fma_f16 v33, v14, v28, -v20
	v_mul_f16_e64 v20, v191, v37
	v_lshrrev_b32_e32 v40, 16, v38
	v_fmac_f16_e32 v31, v15, v34
	v_fma_f16 v34, v15, v29, -v24
	v_mul_f16_e64 v24, v190, v38
	v_fma_f16 v29, v8, v30, -v20
	v_mul_f16_e64 v148, v189, v67
	v_mul_f16_e64 v20, v189, v70
	v_lshrrev_b32_e32 v68, 16, v71
	v_lshrrev_b32_e32 v73, 16, v76
	;; [unrolled: 1-line block ×3, first 2 shown]
	v_fma_f16 v147, v13, v27, -v89
	v_mul_f16_e64 v27, v191, v30
	v_fma_f16 v30, v9, v40, -v24
	v_fmac_f16_e64 v148, v10, v70
	v_fma_f16 v70, v10, v67, -v20
	v_mul_f16_e64 v20, v188, v71
	v_mul_f16_e64 v24, v187, v76
	v_lshrrev_b32_e32 v74, 16, v97
	v_mul_f16_e64 v149, v188, v68
	v_mul_f16_e64 v150, v187, v73
	v_fma_f16 v151, v11, v68, -v20
	v_mul_f16_e64 v20, v186, v97
	v_fma_f16 v152, v43, v73, -v24
	v_mul_f16_e64 v73, v196, v77
	v_mul_f16_e64 v24, v196, v99
	v_lshrrev_b32_e32 v78, 16, v25
	v_lshrrev_b32_e32 v87, 16, v139
	;; [unrolled: 1-line block ×3, first 2 shown]
	v_fmac_f16_e64 v149, v11, v71
	v_mul_f16_e64 v71, v186, v74
	v_fma_f16 v153, v44, v74, -v20
	v_fmac_f16_e32 v73, v12, v99
	v_fma_f16 v74, v12, v77, -v24
	v_mul_f16_e64 v12, v193, v139
	v_fmac_f16_e32 v27, v8, v37
	v_mul_f16_e64 v93, v194, v78
	v_mul_f16_e64 v20, v194, v25
	v_mul_f16_e64 v37, v191, v92
	v_fma_f16 v90, v14, v87, -v12
	v_mul_f16_e64 v12, v191, v141
	v_lshrrev_b32_e32 v91, 16, v35
	v_lshrrev_b32_e32 v95, 16, v39
	;; [unrolled: 1-line block ×3, first 2 shown]
	v_fmac_f16_e32 v93, v13, v25
	v_fma_f16 v94, v13, v78, -v20
	v_mul_f16_e64 v13, v192, v35
	v_fmac_f16_e64 v37, v8, v141
	v_fma_f16 v67, v8, v92, -v12
	v_mul_f16_e64 v8, v189, v143
	v_lshrrev_b32_e32 v106, 16, v72
	v_lshrrev_b32_e32 v109, 16, v98
	v_mul_f16_e64 v28, v190, v40
	v_mul_f16_e64 v89, v193, v87
	v_fma_f16 v77, v15, v91, -v13
	v_mul_f16_e64 v40, v190, v95
	v_mul_f16_e64 v13, v190, v39
	v_fma_f16 v87, v10, v96, -v8
	v_mul_f16_e64 v8, v188, v72
	v_lshrrev_b32_e32 v107, 16, v145
	v_lshrrev_b32_e32 v113, 16, v32
	v_fmac_f16_e32 v28, v9, v38
	v_fmac_f16_e32 v71, v44, v97
	;; [unrolled: 1-line block ×3, first 2 shown]
	v_fma_f16 v68, v9, v95, -v13
	v_mul_f16_e64 v9, v187, v145
	v_mul_f16_e64 v97, v186, v109
	v_fma_f16 v92, v11, v106, -v8
	v_mul_f16_e64 v8, v186, v98
	v_lshrrev_b32_e32 v111, 16, v100
	v_lshrrev_b32_e32 v118, 16, v36
	v_fmac_f16_e64 v150, v43, v76
	v_mul_f16_e64 v76, v192, v91
	v_fmac_f16_e64 v89, v14, v139
	v_mul_f16_e64 v78, v189, v96
	v_fma_f16 v96, v43, v107, -v9
	v_fmac_f16_e32 v97, v44, v98
	v_mul_f16_e64 v9, v185, v100
	v_fma_f16 v98, v44, v109, -v8
	v_mul_f16_e64 v14, v184, v113
	v_mul_f16_e64 v8, v184, v32
	v_lshrrev_b32_e32 v116, 16, v140
	v_lshrrev_b32_e32 v120, 16, v142
	v_fmac_f16_e32 v76, v15, v35
	v_mul_f16_e64 v91, v188, v106
	v_mul_f16_e64 v25, v185, v111
	v_fma_f16 v26, v4, v111, -v9
	v_fmac_f16_e32 v14, v5, v32
	v_fma_f16 v15, v5, v113, -v8
	v_mul_f16_e64 v5, v183, v140
	v_mul_f16_e64 v8, v182, v118
	;; [unrolled: 1-line block ×3, first 2 shown]
	v_fmac_f16_e32 v91, v11, v72
	v_fmac_f16_e32 v25, v4, v100
	v_mul_f16_e64 v11, v183, v116
	v_mul_f16_e64 v4, v181, v120
	v_fma_f16 v12, v6, v116, -v5
	v_fmac_f16_e32 v8, v7, v36
	v_mul_f16_e64 v5, v181, v142
	v_fma_f16 v9, v7, v118, -v9
	v_add_f16_e64 v7, v21, v131
	v_lshrrev_b32_e32 v122, 16, v69
	v_fmac_f16_e64 v11, v6, v140
	v_fmac_f16_e64 v4, v0, v142
	v_fma_f16 v6, v0, v120, -v5
	v_mul_f16_e64 v0, v180, v69
	v_add_f16_e64 v13, v7, v136
	v_fmac_f16_e64 v78, v10, v143
	v_add_f16_e64 v10, v101, v137
	v_lshrrev_b32_e32 v124, 16, v144
	v_fma_f16 v7, v1, v122, -v0
	v_add_f16_e64 v0, v13, v138
	v_lshrrev_b32_e32 v126, 16, v75
	v_mul_f16_e64 v5, v180, v122
	v_add_f16_e64 v20, v10, v147
	v_lshrrev_b32_e32 v128, 16, v146
	v_add_f16_e32 v0, v0, v31
	v_mul_f16_e64 v10, v179, v124
	v_fmac_f16_e32 v5, v1, v69
	v_add_f16_e32 v1, v20, v33
	v_mul_f16_e64 v20, v179, v144
	v_add_f16_e32 v0, v0, v27
	v_mul_f16_e64 v13, v178, v126
	v_mul_f16_e64 v24, v178, v75
	v_sub_f16_e64 v32, v137, v153
	v_fmac_f16_e64 v10, v2, v144
	v_add_f16_e32 v0, v0, v28
	v_fma_f16 v2, v2, v124, -v20
	v_fmac_f16_e32 v13, v3, v75
	v_fma_f16 v3, v3, v126, -v24
	v_mul_f16_e64 v20, v177, v128
	v_add_f16_e64 v0, v0, v148
	v_mul_f16_e64 v24, v177, v146
	v_add_f16_e64 v36, v131, v71
	v_mul_f16_e32 v39, 0xb853, v32
	v_lshrrev_b32_e32 v133, 16, v103
	v_add_f16_e64 v0, v0, v149
	v_mul_f16_e64 v95, v187, v107
	v_mul_f16_e64 v35, v175, v103
	v_fmamk_f16 v44, v36, 0x3abb, v39
	v_mul_f16_e64 v38, v175, v133
	v_add_f16_e64 v0, v0, v150
	v_fmac_f16_e64 v95, v43, v145
	v_sub_f16_e64 v43, v131, v71
	v_mul_f16_e32 v100, 0xbbeb, v32
	v_mul_f16_e32 v107, 0xba0c, v32
	v_add_f16_e32 v0, v0, v71
	v_sub_f16_e64 v122, v147, v152
	v_add_f16_e64 v126, v147, v152
	v_fma_f16 v39, v36, 0x3abb, -v39
	v_fmamk_f16 v111, v36, 0xb93d, v107
	v_fma_f16 v107, v36, 0xb93d, -v107
	v_add_f16_e64 v124, v136, v150
	v_add_f16_e32 v1, v1, v34
	v_add_f16_e32 v39, v21, v39
	;; [unrolled: 1-line block ×4, first 2 shown]
	v_lshrrev_b32_e32 v88, 16, v22
	v_add_f16_e32 v1, v1, v29
	v_add_f16_e64 v139, v93, v95
	v_lshrrev_b32_e32 v23, 16, v19
	s_barrier_wait -1
	global_inv scope:SCOPE_SE
	v_add_f16_e32 v1, v1, v30
	s_delay_alu instid0(VALU_DEP_1) | instskip(NEXT) | instid1(VALU_DEP_1)
	v_add_f16_e32 v1, v1, v70
	v_add_f16_e64 v1, v1, v151
	s_delay_alu instid0(VALU_DEP_1) | instskip(NEXT) | instid1(VALU_DEP_1)
	v_add_f16_e64 v1, v1, v152
	v_add_f16_e64 v1, v1, v153
	s_delay_alu instid0(VALU_DEP_1)
	v_pack_b32_f16 v0, v0, v1
	v_fmac_f16_e64 v20, v41, v146
	v_fma_f16 v24, v41, v128, -v24
	v_add_f16_e64 v41, v137, v153
	v_fma_f16 v69, v42, v133, -v35
	v_add_f16_e32 v35, v21, v44
	v_mul_f16_e32 v44, 0xbb47, v32
	v_mul_f16_e32 v32, 0xb482, v32
	;; [unrolled: 1-line block ×7, first 2 shown]
	v_fmac_f16_e32 v38, v42, v103
	v_fmamk_f16 v42, v43, 0x3853, v72
	v_fmac_f16_e32 v72, 0xb853, v43
	v_fmamk_f16 v75, v36, 0x36a6, v44
	v_fmamk_f16 v99, v43, 0x3b47, v71
	v_fma_f16 v44, v36, 0x36a6, -v44
	v_fmac_f16_e32 v71, 0xbb47, v43
	v_fmamk_f16 v103, v36, 0xb08e, v100
	v_fmamk_f16 v109, v43, 0x3beb, v106
	v_fma_f16 v100, v36, 0xb08e, -v100
	v_fmac_f16_e32 v106, 0xbbeb, v43
	v_fmamk_f16 v116, v43, 0x3a0c, v113
	v_fmac_f16_e32 v113, 0xba0c, v43
	v_fmamk_f16 v118, v36, 0xbbad, v32
	v_fmamk_f16 v120, v43, 0x3482, v41
	v_mul_f16_e64 v128, 0xbb47, v122
	v_fma_f16 v32, v36, 0xbbad, -v32
	v_fmac_f16_e32 v41, 0xb482, v43
	v_sub_f16_e64 v36, v136, v150
	v_mul_f16_e32 v43, 0x36a6, v126
	v_add_f16_e32 v42, v101, v42
	v_add_f16_e32 v72, v101, v72
	;; [unrolled: 1-line block ×14, first 2 shown]
	v_fma_f16 v131, 0x36a6, v124, v128
	v_add_f16_e32 v21, v21, v32
	v_add_f16_e32 v32, v101, v41
	v_mul_f16_e32 v41, 0xba0c, v122
	v_fmamk_f16 v101, v36, 0x3b47, v43
	v_add_f16_e64 v35, v131, v35
	v_fma_f16 v128, v124, 0x36a6, -v128
	v_fmac_f16_e32 v43, 0xbb47, v36
	v_fma_f16 v131, 0xb93d, v124, v41
	v_add_f16_e32 v42, v101, v42
	v_mul_f16_e32 v101, 0xb93d, v126
	v_add_f16_e64 v39, v128, v39
	v_add_f16_e32 v43, v43, v72
	v_add_f16_e64 v72, v131, v75
	v_mul_f16_e32 v75, 0x3482, v122
	v_fma_f16 v128, 0x3a0c, v36, v101
	v_fma_f16 v41, v124, 0xb93d, -v41
	v_fmac_f16_e32 v101, 0xba0c, v36
	v_mul_f16_e64 v131, 0xbbad, v126
	v_fma_f16 v133, 0xbbad, v124, v75
	v_fma_f16 v75, v124, 0xbbad, -v75
	v_add_f16_e32 v41, v41, v44
	v_add_f16_e32 v44, v101, v71
	v_fma_f16 v71, 0xb482, v36, v131
	v_add_f16_e64 v101, v133, v103
	v_mul_f16_e32 v103, 0x3beb, v122
	v_fmac_f16_e64 v131, 0x3482, v36
	v_add_f16_e64 v99, v128, v99
	v_add_f16_e32 v71, v71, v109
	v_mul_f16_e32 v109, 0xb08e, v126
	v_fma_f16 v128, 0xb08e, v124, v103
	v_add_f16_e32 v75, v75, v100
	v_add_f16_e64 v100, v131, v106
	v_mul_f16_e32 v106, 0x3853, v122
	v_fmamk_f16 v122, v36, 0xbbeb, v109
	v_fma_f16 v103, v124, 0xb08e, -v103
	v_fmac_f16_e32 v109, 0x3beb, v36
	v_add_f16_e64 v111, v128, v111
	v_fma_f16 v128, 0x3abb, v124, v106
	v_add_f16_e32 v116, v122, v116
	v_mul_f16_e32 v122, 0x3abb, v126
	v_add_f16_e32 v103, v103, v107
	v_add_f16_e32 v107, v109, v113
	v_sub_f16_e64 v113, v33, v151
	v_add_f16_e64 v33, v33, v151
	v_add_f16_e64 v109, v128, v118
	v_fmamk_f16 v118, v36, 0xb853, v122
	v_fma_f16 v106, v124, 0x3abb, -v106
	v_add_f16_e64 v124, v138, v149
	v_mul_f16_e32 v126, 0xbbeb, v113
	v_fmac_f16_e32 v122, 0x3853, v36
	v_sub_f16_e64 v36, v138, v149
	v_mul_f16_e64 v128, 0xb08e, v33
	v_add_f16_e32 v118, v118, v120
	v_fmamk_f16 v120, v124, 0xb08e, v126
	v_add_f16_e32 v21, v106, v21
	v_add_f16_e32 v32, v122, v32
	v_fma_f16 v106, 0x3beb, v36, v128
	v_mul_f16_e32 v122, 0x3482, v113
	v_add_f16_e32 v35, v120, v35
	v_fma_f16 v120, v124, 0xb08e, -v126
	v_mul_f16_e32 v126, 0xbbad, v33
	v_add_f16_e32 v42, v106, v42
	v_fmamk_f16 v106, v124, 0xbbad, v122
	v_fma_f16 v122, v124, 0xbbad, -v122
	v_mul_f16_e64 v131, 0x36a6, v33
	v_fmac_f16_e64 v128, 0xbbeb, v36
	v_add_f16_e32 v39, v120, v39
	v_add_f16_e32 v72, v106, v72
	v_fmamk_f16 v106, v36, 0xb482, v126
	v_mul_f16_e32 v120, 0x3b47, v113
	v_fmac_f16_e32 v126, 0x3482, v36
	v_add_f16_e32 v41, v122, v41
	v_mul_f16_e32 v122, 0xb853, v113
	v_add_f16_e32 v99, v106, v99
	v_fma_f16 v106, 0xbb47, v36, v131
	v_add_f16_e64 v43, v128, v43
	v_fma_f16 v128, 0x36a6, v124, v120
	v_add_f16_e32 v44, v126, v44
	v_fma_f16 v120, v124, 0x36a6, -v120
	v_mul_f16_e32 v126, 0x3abb, v33
	v_add_f16_e32 v71, v106, v71
	v_fmamk_f16 v106, v124, 0x3abb, v122
	v_mul_f16_e32 v113, 0xba0c, v113
	v_add_f16_e32 v75, v120, v75
	v_fmamk_f16 v120, v36, 0x3853, v126
	v_mul_f16_e32 v33, 0xb93d, v33
	v_add_f16_e32 v106, v106, v111
	v_fma_f16 v111, v124, 0x3abb, -v122
	v_fmac_f16_e64 v131, 0x3b47, v36
	v_add_f16_e32 v116, v120, v116
	v_fmamk_f16 v120, v124, 0xb93d, v113
	v_fmac_f16_e32 v126, 0xb853, v36
	v_add_f16_e32 v103, v111, v103
	v_sub_f16_e32 v111, v34, v70
	v_add_f16_e32 v34, v34, v70
	v_add_f16_e32 v109, v120, v109
	v_fmamk_f16 v120, v36, 0x3a0c, v33
	v_add_f16_e64 v122, v31, v148
	v_fma_f16 v113, v124, 0xb93d, -v113
	v_fmac_f16_e32 v33, 0xba0c, v36
	v_sub_f16_e64 v31, v31, v148
	v_mul_f16_e32 v36, 0xb93d, v34
	v_mul_f16_e32 v70, 0xba0c, v111
	v_add_f16_e32 v21, v113, v21
	v_add_f16_e32 v32, v33, v32
	v_mul_f16_e32 v113, 0x3beb, v111
	v_fmamk_f16 v33, v31, 0x3a0c, v36
	v_fmac_f16_e32 v36, 0xba0c, v31
	v_fmamk_f16 v124, v122, 0xb93d, v70
	v_add_f16_e32 v118, v120, v118
	v_fma_f16 v70, v122, 0xb93d, -v70
	v_add_f16_e32 v33, v33, v42
	v_mul_f16_e32 v42, 0xb08e, v34
	v_fmamk_f16 v120, v122, 0xb08e, v113
	v_add_f16_e32 v36, v36, v43
	v_mul_f16_e32 v43, 0xb853, v111
	v_add_f16_e64 v101, v128, v101
	v_add_f16_e32 v39, v70, v39
	v_fmamk_f16 v70, v31, 0xbbeb, v42
	v_add_f16_e32 v72, v120, v72
	v_fmac_f16_e32 v42, 0x3beb, v31
	v_fmamk_f16 v120, v122, 0x3abb, v43
	v_fma_f16 v113, v122, 0xb08e, -v113
	v_add_f16_e32 v70, v70, v99
	v_mul_f16_e32 v99, 0x3abb, v34
	v_add_f16_e32 v42, v42, v44
	v_add_f16_e32 v44, v120, v101
	v_mul_f16_e32 v101, 0xb482, v111
	v_add_f16_e64 v100, v131, v100
	v_add_f16_e32 v35, v124, v35
	v_add_f16_e32 v41, v113, v41
	v_fmamk_f16 v113, v31, 0x3853, v99
	v_mul_f16_e32 v120, 0xbbad, v34
	v_fmac_f16_e32 v99, 0xb853, v31
	v_fmamk_f16 v124, v122, 0xbbad, v101
	v_mul_f16_e32 v34, 0x36a6, v34
	v_fma_f16 v43, v122, 0x3abb, -v43
	v_add_f16_e32 v71, v113, v71
	v_add_f16_e32 v99, v99, v100
	;; [unrolled: 1-line block ×3, first 2 shown]
	v_mul_f16_e32 v106, 0x3b47, v111
	v_fma_f16 v101, v122, 0xbbad, -v101
	v_fmamk_f16 v113, v31, 0xbb47, v34
	v_add_f16_e32 v43, v43, v75
	v_fmamk_f16 v75, v31, 0x3482, v120
	v_fmamk_f16 v111, v122, 0x36a6, v106
	v_add_f16_e32 v101, v101, v103
	v_sub_f16_e32 v103, v29, v30
	v_add_f16_e32 v113, v113, v118
	v_add_f16_e32 v118, v29, v30
	;; [unrolled: 1-line block ×4, first 2 shown]
	v_fmac_f16_e32 v120, 0xb482, v31
	v_add_f16_e32 v109, v111, v109
	v_add_f16_e32 v111, v27, v28
	v_mul_f16_e32 v116, 0xb482, v103
	v_fma_f16 v29, v122, 0x36a6, -v106
	v_fmac_f16_e32 v34, 0x3b47, v31
	v_sub_f16_e32 v106, v27, v28
	v_mul_f16_e32 v28, 0xbbad, v118
	v_add_f16_e32 v107, v120, v107
	v_fmamk_f16 v30, v111, 0xbbad, v116
	v_add_f16_e32 v120, v29, v21
	v_add_f16_e32 v122, v34, v32
	v_mul_f16_e32 v31, 0x3853, v103
	v_fmamk_f16 v21, v106, 0x3482, v28
	v_mul_f16_e32 v32, 0x3abb, v118
	v_add_f16_e32 v27, v30, v35
	v_fma_f16 v30, v111, 0xbbad, -v116
	v_fmamk_f16 v34, v111, 0x3abb, v31
	v_add_f16_e32 v29, v21, v33
	v_fmamk_f16 v33, v106, 0xb853, v32
	v_mul_f16_e32 v35, 0xba0c, v103
	v_fma_f16 v31, v111, 0x3abb, -v31
	v_fmac_f16_e32 v32, 0x3853, v106
	v_fmac_f16_e32 v28, 0xb482, v106
	v_add_f16_e32 v21, v30, v39
	v_add_f16_e32 v30, v34, v72
	v_mul_f16_e32 v39, 0xb93d, v118
	v_add_f16_e32 v34, v33, v70
	v_fmamk_f16 v33, v111, 0xb93d, v35
	v_fma_f16 v70, v111, 0xb93d, -v35
	v_add_f16_e32 v31, v31, v41
	v_add_f16_e32 v32, v32, v42
	;; [unrolled: 1-line block ×5, first 2 shown]
	v_fmamk_f16 v36, v106, 0x3a0c, v39
	v_add_f16_e32 v35, v33, v44
	v_add_f16_e32 v33, v70, v43
	v_fmac_f16_e32 v39, 0xba0c, v106
	v_mul_f16_e32 v43, 0x3b47, v103
	v_mul_f16_e32 v44, 0x36a6, v118
	v_add_f16_e32 v41, v41, v93
	v_add_f16_e32 v42, v42, v94
	;; [unrolled: 1-line block ×4, first 2 shown]
	v_fmamk_f16 v70, v111, 0x36a6, v43
	v_fmamk_f16 v71, v106, 0xbb47, v44
	v_add_f16_e32 v99, v41, v89
	v_add_f16_e32 v116, v42, v90
	v_fma_f16 v72, v111, 0x36a6, -v43
	v_add_f16_e32 v42, v70, v100
	v_add_f16_e32 v43, v71, v75
	;; [unrolled: 1-line block ×5, first 2 shown]
	v_mul_f16_e32 v72, 0xbbeb, v103
	v_mul_f16_e32 v75, 0xb08e, v118
	v_add_f16_e32 v70, v70, v37
	v_add_f16_e32 v71, v71, v67
	v_fmac_f16_e32 v44, 0x3b47, v106
	v_fmamk_f16 v99, v111, 0xb08e, v72
	v_fmamk_f16 v100, v106, 0x3beb, v75
	v_add_f16_e32 v101, v70, v40
	v_add_f16_e32 v103, v71, v68
	;; [unrolled: 1-line block ×7, first 2 shown]
	v_sub_f16_e32 v101, v74, v98
	v_fmac_f16_e32 v75, 0xbbeb, v106
	v_add_f16_e32 v103, v73, v97
	v_add_f16_e32 v99, v99, v91
	;; [unrolled: 1-line block ×3, first 2 shown]
	v_mul_f16_e32 v106, 0xb853, v101
	v_add_f16_e32 v107, v74, v98
	v_fma_f16 v72, v111, 0xb08e, -v72
	v_add_f16_e32 v74, v99, v95
	v_add_f16_e32 v99, v100, v96
	v_sub_f16_e32 v100, v73, v97
	v_fmamk_f16 v109, v103, 0x3abb, v106
	v_mul_f16_e32 v111, 0x3abb, v107
	v_add_f16_e32 v73, v74, v97
	v_add_f16_e32 v74, v99, v98
	v_mul_f16_e32 v99, 0xbb47, v101
	v_mul_f16_e32 v118, 0xbbeb, v101
	;; [unrolled: 1-line block ×4, first 2 shown]
	v_sub_f16_e64 v138, v94, v96
	v_add_f16_e32 v94, v94, v96
	v_add_f16_e32 v72, v72, v120
	;; [unrolled: 1-line block ×4, first 2 shown]
	v_fmamk_f16 v98, v100, 0x3853, v111
	v_fma_f16 v106, v103, 0x3abb, -v106
	v_mul_f16_e32 v109, 0x36a6, v107
	v_fmamk_f16 v113, v103, 0x36a6, v99
	v_fma_f16 v99, v103, 0x36a6, -v99
	v_fmamk_f16 v120, v103, 0xb08e, v118
	v_mul_f16_e32 v122, 0xb08e, v107
	v_fma_f16 v118, v103, 0xb08e, -v118
	v_fma_f16 v128, 0xb93d, v103, v124
	v_mul_f16_e64 v131, 0xb93d, v107
	v_mul_f16_e32 v107, 0xbbad, v107
	v_fma_f16 v124, v103, 0xb93d, -v124
	v_fma_f16 v136, 0xbbad, v103, v101
	v_mul_f16_e64 v96, 0xbb47, v138
	v_fma_f16 v101, v103, 0xbbad, -v101
	v_sub_f16_e32 v93, v93, v95
	v_mul_f16_e32 v95, 0x36a6, v94
	v_fmac_f16_e32 v111, 0xb853, v100
	v_add_f16_e32 v98, v88, v98
	v_add_f16_e32 v106, v22, v106
	v_fmamk_f16 v116, v100, 0x3b47, v109
	v_add_f16_e32 v113, v22, v113
	v_fmac_f16_e32 v109, 0xbb47, v100
	v_add_f16_e32 v99, v22, v99
	v_add_f16_e32 v120, v22, v120
	v_fmamk_f16 v126, v100, 0x3beb, v122
	v_fmac_f16_e32 v122, 0xbbeb, v100
	v_add_f16_e32 v118, v22, v118
	v_add_f16_e64 v128, v22, v128
	v_fma_f16 v133, 0x3a0c, v100, v131
	v_fmac_f16_e64 v131, 0xba0c, v100
	v_fma_f16 v137, 0x3482, v100, v107
	v_add_f16_e32 v124, v22, v124
	v_add_f16_e64 v136, v22, v136
	v_fmac_f16_e32 v107, 0xb482, v100
	v_fma_f16 v100, 0x36a6, v139, v96
	v_add_f16_e32 v22, v22, v101
	v_mul_f16_e64 v101, 0xba0c, v138
	v_fmamk_f16 v103, v93, 0x3b47, v95
	v_fma_f16 v96, v139, 0x36a6, -v96
	v_add_f16_e32 v111, v88, v111
	v_add_f16_e32 v97, v100, v97
	v_fmac_f16_e32 v95, 0xbb47, v93
	v_fma_f16 v100, 0xb93d, v139, v101
	v_add_f16_e32 v98, v103, v98
	v_mul_f16_e32 v103, 0xb93d, v94
	v_add_f16_e32 v96, v96, v106
	v_mul_f16_e64 v106, 0x3482, v138
	v_add_f16_e32 v116, v88, v116
	v_add_f16_e32 v109, v88, v109
	;; [unrolled: 1-line block ×4, first 2 shown]
	v_add_f16_e64 v133, v88, v133
	v_add_f16_e64 v131, v88, v131
	;; [unrolled: 1-line block ×3, first 2 shown]
	v_add_f16_e32 v88, v88, v107
	v_add_f16_e32 v95, v95, v111
	;; [unrolled: 1-line block ×3, first 2 shown]
	v_fmamk_f16 v107, v93, 0x3a0c, v103
	v_fma_f16 v101, v139, 0xb93d, -v101
	v_fmac_f16_e32 v103, 0xba0c, v93
	v_mul_f16_e32 v111, 0xbbad, v94
	v_fma_f16 v113, 0xbbad, v139, v106
	v_fma_f16 v106, v139, 0xbbad, -v106
	v_add_f16_e32 v99, v101, v99
	v_add_f16_e32 v101, v103, v109
	v_fmamk_f16 v103, v93, 0xb482, v111
	v_add_f16_e32 v109, v113, v120
	v_mul_f16_e64 v113, 0x3beb, v138
	v_add_f16_e32 v106, v106, v118
	v_mul_f16_e64 v118, 0x3853, v138
	v_add_f16_e32 v107, v107, v116
	v_fmac_f16_e32 v111, 0x3482, v93
	v_add_f16_e32 v103, v103, v126
	v_mul_f16_e32 v116, 0xb08e, v94
	v_fma_f16 v120, 0xb08e, v139, v113
	v_fma_f16 v113, v139, 0xb08e, -v113
	v_fma_f16 v126, 0x3abb, v139, v118
	v_add_f16_e32 v111, v111, v122
	v_fmamk_f16 v122, v93, 0xbbeb, v116
	v_fmac_f16_e32 v116, 0x3beb, v93
	v_mul_f16_e32 v94, 0x3abb, v94
	v_add_f16_e32 v113, v113, v124
	v_add_f16_e64 v124, v126, v136
	v_sub_f16_e32 v126, v90, v92
	v_add_f16_e32 v90, v90, v92
	v_add_f16_e64 v120, v120, v128
	v_add_f16_e64 v116, v116, v131
	v_fma_f16 v128, 0xb853, v93, v94
	v_fma_f16 v118, v139, 0x3abb, -v118
	v_add_f16_e32 v92, v89, v91
	v_mul_f16_e64 v131, 0xbbeb, v126
	v_fmac_f16_e32 v94, 0x3853, v93
	v_sub_f16_e32 v89, v89, v91
	v_mul_f16_e32 v91, 0xb08e, v90
	v_add_f16_e64 v93, v128, v137
	v_fma_f16 v128, 0xb08e, v92, v131
	v_add_f16_e32 v22, v118, v22
	v_add_f16_e32 v88, v94, v88
	v_fmamk_f16 v94, v89, 0x3beb, v91
	v_mul_f16_e32 v118, 0x3482, v126
	v_fmac_f16_e32 v91, 0xbbeb, v89
	v_add_f16_e64 v97, v128, v97
	v_fma_f16 v128, v92, 0xb08e, -v131
	v_add_f16_e32 v94, v94, v98
	v_fmamk_f16 v98, v92, 0xbbad, v118
	v_mul_f16_e64 v131, 0xbbad, v90
	v_add_f16_e32 v91, v91, v95
	v_mul_f16_e32 v95, 0x3b47, v126
	v_add_f16_e64 v122, v122, v133
	v_add_f16_e64 v96, v128, v96
	v_add_f16_e32 v98, v98, v100
	v_fma_f16 v100, 0xb482, v89, v131
	v_fma_f16 v118, v92, 0xbbad, -v118
	v_fma_f16 v128, 0x36a6, v92, v95
	v_mul_f16_e64 v133, 0x36a6, v90
	v_fma_f16 v95, v92, 0x36a6, -v95
	v_add_f16_e32 v100, v100, v107
	v_add_f16_e32 v99, v118, v99
	v_add_f16_e64 v107, v128, v109
	v_fma_f16 v109, 0xbb47, v89, v133
	v_mul_f16_e32 v118, 0xb853, v126
	v_fmac_f16_e64 v133, 0x3b47, v89
	v_mul_f16_e64 v128, 0x3abb, v90
	v_mul_f16_e32 v126, 0xba0c, v126
	v_add_f16_e32 v103, v109, v103
	v_fmamk_f16 v109, v92, 0x3abb, v118
	v_fma_f16 v118, v92, 0x3abb, -v118
	v_add_f16_e32 v95, v95, v106
	v_add_f16_e64 v106, v133, v111
	v_fma_f16 v111, 0x3853, v89, v128
	v_add_f16_e32 v109, v109, v120
	v_fmamk_f16 v120, v92, 0xb93d, v126
	v_mul_f16_e32 v90, 0xb93d, v90
	v_add_f16_e32 v113, v118, v113
	v_sub_f16_e32 v118, v77, v87
	v_add_f16_e32 v77, v77, v87
	v_add_f16_e32 v111, v111, v122
	;; [unrolled: 1-line block ×3, first 2 shown]
	v_fmamk_f16 v122, v89, 0x3a0c, v90
	v_add_f16_e32 v124, v76, v78
	v_fmac_f16_e32 v90, 0xba0c, v89
	v_sub_f16_e32 v76, v76, v78
	v_mul_f16_e32 v78, 0xb93d, v77
	v_mul_f16_e32 v87, 0xba0c, v118
	v_fmac_f16_e64 v131, 0x3482, v89
	v_add_f16_e32 v88, v90, v88
	v_fmac_f16_e64 v128, 0xb853, v89
	v_fmamk_f16 v90, v76, 0x3a0c, v78
	v_fma_f16 v92, v92, 0xb93d, -v126
	v_fmamk_f16 v89, v124, 0xb93d, v87
	v_fma_f16 v87, v124, 0xb93d, -v87
	v_fmac_f16_e32 v78, 0xba0c, v76
	v_add_f16_e32 v90, v90, v94
	v_mul_f16_e32 v94, 0xb08e, v77
	v_add_f16_e32 v22, v92, v22
	v_mul_f16_e32 v92, 0x3beb, v118
	v_add_f16_e32 v87, v87, v96
	v_add_f16_e64 v101, v131, v101
	v_fmamk_f16 v96, v76, 0xbbeb, v94
	v_add_f16_e32 v89, v89, v97
	v_fmamk_f16 v97, v124, 0xb08e, v92
	v_add_f16_e32 v78, v78, v91
	v_mul_f16_e32 v91, 0xb853, v118
	v_fma_f16 v92, v124, 0xb08e, -v92
	v_fmac_f16_e32 v94, 0x3beb, v76
	v_add_f16_e32 v96, v96, v100
	v_mul_f16_e32 v100, 0x3abb, v77
	v_add_f16_e32 v97, v97, v98
	v_fmamk_f16 v98, v124, 0x3abb, v91
	v_add_f16_e32 v92, v92, v99
	v_add_f16_e32 v94, v94, v101
	v_mul_f16_e32 v99, 0xb482, v118
	v_fmamk_f16 v101, v76, 0x3853, v100
	v_fmac_f16_e32 v100, 0xb853, v76
	v_add_f16_e32 v93, v122, v93
	v_add_f16_e32 v98, v98, v107
	v_fma_f16 v91, v124, 0x3abb, -v91
	v_mul_f16_e32 v107, 0xbbad, v77
	v_fmamk_f16 v122, v124, 0xbbad, v99
	v_add_f16_e32 v100, v100, v106
	v_mul_f16_e32 v106, 0x3b47, v118
	v_add_f16_e32 v101, v101, v103
	v_add_f16_e32 v91, v91, v95
	v_fmamk_f16 v95, v76, 0x3482, v107
	v_add_f16_e32 v103, v122, v109
	v_fmamk_f16 v109, v124, 0x36a6, v106
	v_add_f16_e64 v116, v128, v116
	v_fmac_f16_e32 v107, 0xb482, v76
	v_add_f16_e32 v95, v95, v111
	v_sub_f16_e32 v111, v67, v68
	v_add_f16_e32 v109, v109, v120
	v_add_f16_e32 v120, v67, v68
	v_fma_f16 v99, v124, 0xbbad, -v99
	v_mul_f16_e32 v77, 0x36a6, v77
	v_add_f16_e32 v107, v107, v116
	v_add_f16_e32 v116, v37, v40
	v_mul_f16_e32 v118, 0xb482, v111
	v_fma_f16 v67, v124, 0x36a6, -v106
	v_sub_f16_e32 v106, v37, v40
	v_mul_f16_e32 v40, 0xbbad, v120
	v_add_f16_e32 v99, v99, v113
	v_fmamk_f16 v113, v76, 0xbb47, v77
	v_fmac_f16_e32 v77, 0x3b47, v76
	v_fmamk_f16 v68, v116, 0xbbad, v118
	v_mul_f16_e32 v76, 0x3853, v111
	v_fmamk_f16 v37, v106, 0x3482, v40
	v_fmac_f16_e32 v40, 0xb482, v106
	v_add_f16_e32 v122, v67, v22
	v_add_f16_e32 v124, v77, v88
	;; [unrolled: 1-line block ×3, first 2 shown]
	v_fma_f16 v68, v116, 0xbbad, -v118
	v_fmamk_f16 v88, v116, 0x3abb, v76
	v_add_f16_e32 v40, v40, v78
	v_mul_f16_e32 v78, 0xba0c, v111
	v_mul_f16_e32 v77, 0x3abb, v120
	v_add_f16_e32 v67, v37, v90
	v_add_f16_e32 v37, v68, v87
	;; [unrolled: 1-line block ×3, first 2 shown]
	v_fma_f16 v76, v116, 0x3abb, -v76
	v_fmamk_f16 v88, v116, 0xb93d, v78
	v_fma_f16 v78, v116, 0xb93d, -v78
	v_fmamk_f16 v87, v106, 0xb853, v77
	v_fmac_f16_e32 v77, 0x3853, v106
	v_add_f16_e32 v76, v76, v92
	v_mul_f16_e32 v92, 0x3b47, v111
	v_add_f16_e32 v78, v78, v91
	v_add_f16_e32 v91, v19, v25
	;; [unrolled: 1-line block ×6, first 2 shown]
	v_mul_f16_e32 v94, 0x36a6, v120
	v_fmamk_f16 v96, v116, 0x36a6, v92
	v_add_f16_e32 v97, v91, v14
	v_mul_f16_e32 v90, 0xb93d, v120
	v_add_f16_e32 v88, v88, v98
	v_add_f16_e32 v93, v93, v15
	v_fmamk_f16 v98, v106, 0xbb47, v94
	v_add_f16_e32 v91, v96, v103
	v_add_f16_e32 v96, v97, v11
	v_fmamk_f16 v89, v106, 0x3a0c, v90
	v_fmac_f16_e32 v90, 0xba0c, v106
	v_add_f16_e32 v97, v93, v12
	v_add_f16_e32 v93, v98, v95
	;; [unrolled: 1-line block ×3, first 2 shown]
	v_fma_f16 v92, v116, 0x36a6, -v92
	v_add_f16_e32 v90, v90, v100
	v_mul_f16_e32 v98, 0xbbeb, v111
	v_add_f16_e32 v96, v97, v9
	v_add_f16_e32 v100, v95, v4
	;; [unrolled: 1-line block ×3, first 2 shown]
	v_mul_f16_e32 v99, 0xb08e, v120
	v_fmamk_f16 v97, v116, 0xb08e, v98
	v_add_f16_e32 v96, v96, v6
	v_add_f16_e32 v100, v100, v5
	;; [unrolled: 1-line block ×3, first 2 shown]
	v_fma_f16 v98, v116, 0xb08e, -v98
	v_add_f16_e32 v95, v97, v109
	v_fmamk_f16 v97, v106, 0x3beb, v99
	v_add_f16_e32 v101, v96, v7
	v_fmac_f16_e32 v99, 0xbbeb, v106
	v_add_f16_e32 v100, v100, v10
	v_fmac_f16_e32 v94, 0x3b47, v106
	v_add_f16_e32 v96, v97, v113
	v_add_f16_e32 v101, v101, v2
	;; [unrolled: 1-line block ×4, first 2 shown]
	v_sub_f16_e32 v99, v26, v69
	v_add_f16_e32 v100, v100, v13
	v_add_f16_e32 v94, v94, v107
	;; [unrolled: 1-line block ×5, first 2 shown]
	v_mul_f16_e32 v107, 0xb853, v99
	v_add_f16_e32 v26, v100, v20
	v_add_f16_e32 v100, v101, v24
	v_sub_f16_e32 v101, v25, v38
	v_mul_f16_e32 v109, 0x3abb, v106
	v_fmamk_f16 v111, v103, 0x3abb, v107
	v_add_f16_e32 v25, v26, v38
	v_mul_f16_e32 v38, 0xbb47, v99
	v_mul_f16_e32 v113, 0x36a6, v106
	;; [unrolled: 1-line block ×5, first 2 shown]
	v_mul_f16_e64 v128, 0xb93d, v106
	v_mul_f16_e32 v99, 0xb482, v99
	v_mul_f16_e32 v106, 0xbbad, v106
	v_sub_f16_e64 v137, v15, v24
	v_add_f16_e32 v26, v100, v69
	v_add_f16_e32 v100, v19, v111
	v_fma_f16 v107, v103, 0x3abb, -v107
	v_fmamk_f16 v111, v103, 0x36a6, v38
	v_fma_f16 v38, v103, 0x36a6, -v38
	v_fmamk_f16 v122, v103, 0xb08e, v116
	v_fma_f16 v116, v103, 0xb08e, -v116
	v_fma_f16 v131, 0xb93d, v103, v126
	v_fma_f16 v126, v103, 0xb93d, -v126
	v_fma_f16 v136, 0xbbad, v103, v99
	v_fma_f16 v138, 0x3482, v101, v106
	v_fma_f16 v99, v103, 0xbbad, -v99
	v_add_f16_e32 v15, v15, v24
	v_add_f16_e32 v24, v14, v20
	v_mul_f16_e64 v103, 0xbb47, v137
	v_fmamk_f16 v69, v101, 0x3853, v109
	v_fmac_f16_e32 v109, 0xb853, v101
	v_fmamk_f16 v118, v101, 0x3b47, v113
	v_fmac_f16_e32 v113, 0xbb47, v101
	;; [unrolled: 2-line block ×3, first 2 shown]
	v_fma_f16 v133, 0x3a0c, v101, v128
	v_fmac_f16_e64 v128, 0xba0c, v101
	v_fmac_f16_e32 v106, 0xb482, v101
	v_sub_f16_e32 v14, v14, v20
	v_mul_f16_e32 v20, 0x36a6, v15
	v_add_f16_e64 v101, v23, v138
	v_fma_f16 v138, 0x36a6, v24, v103
	v_add_f16_e32 v69, v23, v69
	v_add_f16_e32 v107, v19, v107
	;; [unrolled: 1-line block ×11, first 2 shown]
	v_add_f16_e64 v131, v19, v131
	v_add_f16_e64 v133, v23, v133
	v_add_f16_e32 v126, v19, v126
	v_add_f16_e64 v128, v23, v128
	v_add_f16_e64 v136, v19, v136
	v_add_f16_e32 v19, v19, v99
	v_add_f16_e32 v23, v23, v106
	v_fmamk_f16 v99, v14, 0x3b47, v20
	v_mul_f16_e64 v106, 0xba0c, v137
	v_add_f16_e64 v100, v138, v100
	v_fma_f16 v103, v24, 0x36a6, -v103
	v_fmac_f16_e32 v20, 0xbb47, v14
	v_mul_f16_e64 v138, 0xb93d, v15
	v_add_f16_e32 v69, v99, v69
	v_fmamk_f16 v99, v24, 0xb93d, v106
	v_add_f16_e32 v103, v103, v107
	v_add_f16_e32 v20, v20, v109
	v_mul_f16_e64 v107, 0x3482, v137
	v_fma_f16 v109, 0x3a0c, v14, v138
	v_fma_f16 v106, v24, 0xb93d, -v106
	v_fmac_f16_e64 v138, 0xba0c, v14
	v_mul_f16_e64 v139, 0xbbad, v15
	v_add_f16_e32 v99, v99, v111
	v_fmamk_f16 v111, v24, 0xbbad, v107
	v_add_f16_e32 v109, v109, v118
	v_add_f16_e32 v38, v106, v38
	v_add_f16_e64 v106, v138, v113
	v_fma_f16 v113, 0xb482, v14, v139
	v_mul_f16_e64 v118, 0x3beb, v137
	v_add_f16_e32 v111, v111, v122
	v_fma_f16 v107, v24, 0xbbad, -v107
	v_mul_f16_e32 v122, 0xb08e, v15
	v_add_f16_e32 v113, v113, v124
	v_fmamk_f16 v124, v24, 0xb08e, v118
	v_mul_f16_e64 v137, 0x3853, v137
	v_fma_f16 v118, v24, 0xb08e, -v118
	v_add_f16_e32 v107, v107, v116
	v_fmamk_f16 v116, v14, 0xbbeb, v122
	v_add_f16_e64 v124, v124, v131
	v_fmac_f16_e32 v122, 0x3beb, v14
	v_fma_f16 v131, 0x3abb, v24, v137
	v_add_f16_e32 v118, v118, v126
	v_sub_f16_e32 v126, v12, v3
	v_add_f16_e64 v116, v116, v133
	v_mul_f16_e32 v15, 0x3abb, v15
	v_add_f16_e64 v122, v122, v128
	v_add_f16_e64 v128, v131, v136
	;; [unrolled: 1-line block ×3, first 2 shown]
	v_mul_f16_e64 v136, 0xbbeb, v126
	v_add_f16_e32 v3, v12, v3
	v_fmac_f16_e64 v139, 0x3482, v14
	v_fma_f16 v131, 0xb853, v14, v15
	v_fma_f16 v12, v24, 0x3abb, -v137
	v_fmac_f16_e32 v15, 0x3853, v14
	v_sub_f16_e32 v11, v11, v13
	v_fma_f16 v13, 0xb08e, v133, v136
	v_mul_f16_e32 v14, 0xb08e, v3
	v_add_f16_e64 v24, v131, v101
	v_add_f16_e32 v12, v12, v19
	v_add_f16_e32 v15, v15, v23
	v_add_f16_e32 v13, v13, v100
	v_fmamk_f16 v19, v11, 0x3beb, v14
	v_mul_f16_e32 v23, 0x3482, v126
	v_fma_f16 v100, v133, 0xb08e, -v136
	v_fmac_f16_e32 v14, 0xbbeb, v11
	v_mul_f16_e32 v101, 0xbbad, v3
	v_add_f16_e32 v19, v19, v69
	v_fma_f16 v69, 0xbbad, v133, v23
	v_add_f16_e32 v100, v100, v103
	v_add_f16_e32 v14, v14, v20
	v_fmamk_f16 v20, v11, 0xb482, v101
	v_mul_f16_e32 v103, 0x3b47, v126
	v_fma_f16 v23, v133, 0xbbad, -v23
	v_fmac_f16_e32 v101, 0x3482, v11
	v_add_f16_e32 v69, v69, v99
	v_add_f16_e32 v20, v20, v109
	v_fma_f16 v99, 0x36a6, v133, v103
	v_mul_f16_e32 v109, 0x36a6, v3
	v_add_f16_e32 v23, v23, v38
	v_add_f16_e32 v38, v101, v106
	v_mul_f16_e32 v101, 0xb853, v126
	v_add_f16_e64 v120, v139, v120
	v_add_f16_e32 v99, v99, v111
	v_fmamk_f16 v106, v11, 0xbb47, v109
	v_fma_f16 v103, v133, 0x36a6, -v103
	v_fmac_f16_e32 v109, 0x3b47, v11
	v_fma_f16 v111, 0x3abb, v133, v101
	v_mul_f16_e64 v131, 0x3abb, v3
	v_mul_f16_e32 v3, 0xb93d, v3
	v_add_f16_e32 v103, v103, v107
	v_add_f16_e32 v107, v109, v120
	;; [unrolled: 1-line block ×3, first 2 shown]
	v_fma_f16 v111, 0x3853, v11, v131
	v_fma_f16 v101, v133, 0x3abb, -v101
	v_fmac_f16_e64 v131, 0xb853, v11
	v_add_f16_e32 v106, v106, v113
	v_mul_f16_e32 v113, 0xba0c, v126
	v_fmamk_f16 v120, v11, 0x3a0c, v3
	v_add_f16_e32 v101, v101, v118
	v_add_f16_e64 v118, v131, v122
	v_sub_f16_e32 v122, v9, v2
	v_add_f16_e32 v2, v9, v2
	v_add_f16_e32 v111, v111, v116
	v_fma_f16 v116, 0xb93d, v133, v113
	v_add_f16_e32 v24, v120, v24
	v_add_f16_e32 v120, v8, v10
	v_mul_f16_e32 v9, 0xba0c, v122
	v_fma_f16 v113, v133, 0xb93d, -v113
	v_fmac_f16_e32 v3, 0xba0c, v11
	v_sub_f16_e32 v8, v8, v10
	v_mul_f16_e32 v10, 0xb93d, v2
	v_fmamk_f16 v11, v120, 0xb93d, v9
	v_add_f16_e32 v12, v113, v12
	v_add_f16_e32 v3, v3, v15
	v_mul_f16_e32 v15, 0x3beb, v122
	v_fmamk_f16 v113, v8, 0x3a0c, v10
	v_add_f16_e32 v11, v11, v13
	v_fma_f16 v9, v120, 0xb93d, -v9
	v_fmac_f16_e32 v10, 0xba0c, v8
	v_fmamk_f16 v13, v120, 0xb08e, v15
	v_add_f16_e32 v19, v113, v19
	v_mul_f16_e32 v113, 0xb08e, v2
	v_add_f16_e32 v9, v9, v100
	v_add_f16_e32 v10, v10, v14
	v_add_f16_e32 v13, v13, v69
	v_mul_f16_e32 v14, 0xb853, v122
	v_fmamk_f16 v69, v8, 0xbbeb, v113
	v_fma_f16 v15, v120, 0xb08e, -v15
	v_fmac_f16_e32 v113, 0x3beb, v8
	v_mul_f16_e32 v100, 0x3abb, v2
	v_fmamk_f16 v124, v120, 0x3abb, v14
	v_add_f16_e32 v20, v69, v20
	v_add_f16_e32 v15, v15, v23
	;; [unrolled: 1-line block ×3, first 2 shown]
	v_fmamk_f16 v38, v8, 0x3853, v100
	v_add_f16_e32 v69, v124, v99
	v_mul_f16_e32 v99, 0xb482, v122
	v_fma_f16 v14, v120, 0x3abb, -v14
	v_fmac_f16_e32 v100, 0xb853, v8
	v_add_f16_e32 v38, v38, v106
	v_mul_f16_e32 v106, 0xbbad, v2
	v_fmamk_f16 v113, v120, 0xbbad, v99
	v_add_f16_e32 v14, v14, v103
	v_add_f16_e32 v100, v100, v107
	v_mul_f16_e32 v103, 0x3b47, v122
	v_fmamk_f16 v107, v8, 0x3482, v106
	v_add_f16_e64 v116, v116, v128
	v_add_f16_e32 v109, v113, v109
	v_fma_f16 v99, v120, 0xbbad, -v99
	v_fmac_f16_e32 v106, 0xb482, v8
	v_fmamk_f16 v113, v120, 0x36a6, v103
	v_add_f16_e32 v107, v107, v111
	v_mul_f16_e32 v2, 0x36a6, v2
	v_sub_f16_e32 v111, v6, v7
	v_add_f16_e32 v6, v6, v7
	v_add_f16_e32 v99, v99, v101
	;; [unrolled: 1-line block ×4, first 2 shown]
	v_fmamk_f16 v113, v8, 0xbb47, v2
	v_fma_f16 v103, v120, 0x36a6, -v103
	v_add_f16_e32 v7, v4, v5
	v_mul_f16_e32 v116, 0xb482, v111
	v_fmac_f16_e32 v2, 0x3b47, v8
	v_sub_f16_e32 v4, v4, v5
	v_mul_f16_e32 v5, 0xbbad, v6
	v_add_f16_e32 v8, v113, v24
	v_fmamk_f16 v24, v7, 0xbbad, v116
	v_add_f16_e32 v12, v103, v12
	v_add_f16_e32 v2, v2, v3
	v_fmamk_f16 v3, v4, 0x3482, v5
	v_mul_f16_e32 v103, 0x3853, v111
	v_fmac_f16_e32 v5, 0xb482, v4
	v_add_f16_e32 v11, v24, v11
	v_fma_f16 v24, v7, 0xbbad, -v116
	v_add_f16_e32 v3, v3, v19
	v_fmamk_f16 v19, v7, 0x3abb, v103
	v_mul_f16_e32 v113, 0x3abb, v6
	v_add_f16_e32 v5, v5, v10
	v_mul_f16_e32 v10, 0xba0c, v111
	v_add_f16_e32 v9, v24, v9
	v_add_f16_e32 v13, v19, v13
	v_fmamk_f16 v19, v4, 0xb853, v113
	v_fma_f16 v24, v7, 0x3abb, -v103
	v_fmac_f16_e32 v113, 0x3853, v4
	v_fmamk_f16 v103, v7, 0xb93d, v10
	v_mul_f16_e32 v116, 0xb93d, v6
	v_add_f16_e32 v19, v19, v20
	v_add_f16_e32 v15, v24, v15
	;; [unrolled: 1-line block ×4, first 2 shown]
	v_fmamk_f16 v24, v4, 0x3a0c, v116
	v_mul_f16_e32 v69, 0x3b47, v111
	v_fma_f16 v10, v7, 0xb93d, -v10
	v_fmac_f16_e32 v116, 0xba0c, v4
	v_mul_f16_e32 v103, 0x36a6, v6
	v_add_f16_e32 v24, v24, v38
	v_fmamk_f16 v38, v7, 0x36a6, v69
	v_add_f16_e32 v10, v10, v14
	v_add_f16_e32 v14, v116, v100
	v_fmamk_f16 v100, v4, 0xbb47, v103
	v_fma_f16 v69, v7, 0x36a6, -v69
	v_add_f16_e32 v38, v38, v109
	v_mul_f16_e32 v109, 0xbbeb, v111
	v_mul_f16_e32 v6, 0xb08e, v6
	v_add_f16_e32 v100, v100, v107
	v_add_f16_e32 v69, v69, v99
	v_pack_b32_f16 v1, v27, v29
	v_fmamk_f16 v99, v7, 0xb08e, v109
	v_fmamk_f16 v107, v4, 0x3beb, v6
	v_fma_f16 v7, v7, 0xb08e, -v109
	v_fmac_f16_e32 v6, 0xbbeb, v4
	v_fmac_f16_e32 v103, 0x3b47, v4
	v_pack_b32_f16 v27, v33, v39
	v_pack_b32_f16 v29, v31, v32
	v_add_f16_e32 v7, v7, v12
	v_add_f16_e32 v2, v6, v2
	v_pack_b32_f16 v6, v30, v34
	v_pack_b32_f16 v12, v35, v36
	ds_store_2addr_b32 v102, v0, v1 offset1:51
	ds_store_2addr_b32 v102, v6, v12 offset0:102 offset1:153
	v_pack_b32_f16 v0, v42, v43
	v_pack_b32_f16 v1, v70, v71
	;; [unrolled: 1-line block ×8, first 2 shown]
	ds_store_2addr_b32 v102, v0, v1 offset0:204 offset1:255
	ds_store_2addr_b32 v86, v6, v12 offset0:50 offset1:101
	;; [unrolled: 1-line block ×5, first 2 shown]
	v_pack_b32_f16 v0, v88, v89
	v_pack_b32_f16 v1, v91, v93
	v_add_f16_e32 v99, v99, v106
	v_add_f16_e32 v8, v107, v8
	v_pack_b32_f16 v6, v95, v96
	v_pack_b32_f16 v12, v97, v98
	v_add_f16_e32 v4, v103, v101
	v_pack_b32_f16 v21, v92, v94
	v_pack_b32_f16 v22, v78, v90
	;; [unrolled: 1-line block ×6, first 2 shown]
	v_add_nc_u32_e32 v11, 0x1000, v195
	ds_store_2addr_b32 v82, v0, v1 offset0:202 offset1:253
	ds_store_2addr_b32 v81, v6, v12 offset0:48 offset1:99
	;; [unrolled: 1-line block ×5, first 2 shown]
	v_pack_b32_f16 v0, v13, v19
	v_pack_b32_f16 v1, v23, v24
	;; [unrolled: 1-line block ×4, first 2 shown]
	v_add_nc_u32_e32 v8, 0x1400, v195
	v_pack_b32_f16 v2, v7, v2
	v_pack_b32_f16 v4, v69, v4
	;; [unrolled: 1-line block ×4, first 2 shown]
	v_add_nc_u32_e32 v12, 0x1600, v195
	v_pack_b32_f16 v5, v9, v5
	ds_store_2addr_b32 v11, v0, v1 offset0:200 offset1:251
	ds_store_2addr_b32 v8, v3, v6 offset0:46 offset1:97
	;; [unrolled: 1-line block ×4, first 2 shown]
	ds_store_b32 v195, v5 offset:6528
	global_wb scope:SCOPE_SE
	s_wait_dscnt 0x0
	s_barrier_signal -1
	s_barrier_wait -1
	global_inv scope:SCOPE_SE
	ds_load_2addr_b32 v[10:11], v102 offset1:51
	ds_load_2addr_b32 v[0:1], v83 offset0:126 offset1:177
	ds_load_2addr_b32 v[21:22], v80 offset0:98 offset1:149
	;; [unrolled: 1-line block ×6, first 2 shown]
	scratch_load_b32 v18, off, off offset:112 th:TH_LOAD_LU ; 4-byte Folded Reload
	ds_load_2addr_b32 v[29:30], v84 offset0:46 offset1:97
	ds_load_2addr_b32 v[31:32], v81 offset0:48 offset1:99
	;; [unrolled: 1-line block ×6, first 2 shown]
	ds_load_b32 v75, v102 offset:6528
	ds_load_2addr_b32 v[6:7], v102 offset0:204 offset1:255
	ds_load_2addr_b32 v[8:9], v86 offset0:50 offset1:101
	;; [unrolled: 1-line block ×3, first 2 shown]
	s_wait_dscnt 0x10
	v_lshrrev_b32_e32 v12, 16, v10
	s_wait_dscnt 0xf
	v_lshrrev_b32_e32 v41, 16, v1
	;; [unrolled: 2-line block ×4, first 2 shown]
	v_lshrrev_b32_e32 v44, 16, v22
	v_lshrrev_b32_e32 v67, 16, v24
	v_mul_f16_e64 v97, v209, v41
	v_mul_f16_e64 v101, v218, v42
	;; [unrolled: 1-line block ×4, first 2 shown]
	s_wait_dscnt 0xb
	v_lshrrev_b32_e32 v68, 16, v25
	v_fmac_f16_e64 v97, v207, v1
	v_mul_f16_e64 v1, v218, v21
	v_fmac_f16_e64 v101, v208, v21
	v_mul_f16_e64 v21, v217, v23
	v_fmac_f16_e32 v45, v46, v23
	v_mul_f16_e64 v23, v215, v22
	v_fma_f16 v1, v208, v42, -v1
	v_mul_f16_e64 v42, v215, v44
	v_fma_f16 v21, v46, v43, -v21
	v_mul_f16_e64 v43, v216, v67
	s_wait_dscnt 0xa
	v_lshrrev_b32_e32 v70, 16, v27
	v_lshrrev_b32_e32 v71, 16, v26
	;; [unrolled: 1-line block ×3, first 2 shown]
	s_wait_dscnt 0x9
	v_lshrrev_b32_e32 v74, 16, v29
	v_fmac_f16_e32 v42, v47, v22
	v_mul_f16_e64 v22, v216, v24
	v_fma_f16 v23, v47, v44, -v23
	v_mul_f16_e64 v44, v214, v68
	v_fmac_f16_e32 v43, v48, v24
	v_mul_f16_e64 v24, v214, v25
	v_mul_f16_e64 v46, v212, v70
	;; [unrolled: 1-line block ×3, first 2 shown]
	s_wait_dscnt 0x8
	v_lshrrev_b32_e32 v77, 16, v31
	v_fma_f16 v22, v48, v67, -v22
	v_fmac_f16_e32 v44, v49, v25
	v_mul_f16_e64 v25, v212, v27
	v_fma_f16 v24, v49, v68, -v24
	v_mul_f16_e64 v48, v211, v73
	v_mul_f16_e32 v49, v66, v74
	v_lshrrev_b32_e32 v78, 16, v30
	v_lshrrev_b32_e32 v88, 16, v32
	v_fmac_f16_e32 v46, v50, v27
	v_mul_f16_e64 v27, v213, v26
	v_fmac_f16_e32 v47, v51, v26
	v_mul_f16_e64 v26, v211, v28
	s_wait_dscnt 0x7
	v_lshrrev_b32_e32 v89, 16, v33
	s_wait_dscnt 0x6
	v_lshrrev_b32_e32 v91, 16, v35
	v_fma_f16 v25, v50, v70, -v25
	v_fmac_f16_e32 v48, v52, v28
	v_mul_f16_e32 v28, v66, v29
	v_mul_f16_e64 v50, v210, v77
	v_fmac_f16_e32 v49, v53, v29
	v_mul_f16_e64 v29, v210, v31
	v_fma_f16 v27, v51, v71, -v27
	v_fma_f16 v26, v52, v73, -v26
	v_mul_f16_e64 v52, v205, v88
	v_lshrrev_b32_e32 v92, 16, v34
	v_fma_f16 v28, v53, v74, -v28
	v_fmac_f16_e32 v50, v54, v31
	v_fma_f16 v29, v54, v77, -v29
	v_mul_f16_e64 v53, v206, v89
	v_mul_f16_e64 v54, v204, v91
	v_lshrrev_b32_e32 v93, 16, v36
	s_wait_dscnt 0x5
	v_lshrrev_b32_e32 v94, 16, v37
	v_fmac_f16_e32 v52, v56, v32
	s_wait_dscnt 0x4
	v_lshrrev_b32_e32 v95, 16, v39
	v_lshrrev_b32_e32 v96, 16, v38
	v_fmac_f16_e32 v53, v57, v33
	v_fmac_f16_e32 v54, v58, v35
	v_lshrrev_b32_e32 v98, 16, v40
	v_fma_f16 v41, v207, v41, -v99
	s_wait_dscnt 0x3
	v_lshrrev_b32_e32 v100, 16, v75
	v_lshrrev_b32_e32 v15, 16, v11
	v_add_f16_e32 v66, v11, v45
	v_lshrrev_b32_e32 v20, 16, v4
	v_lshrrev_b32_e32 v69, 16, v5
	s_wait_dscnt 0x2
	v_lshrrev_b32_e32 v72, 16, v6
	v_lshrrev_b32_e32 v76, 16, v7
	v_add_f16_e32 v66, v66, v42
	s_wait_dscnt 0x1
	v_lshrrev_b32_e32 v87, 16, v8
	v_lshrrev_b32_e32 v90, 16, v9
	s_wait_dscnt 0x0
	v_lshrrev_b32_e32 v19, 16, v2
	v_lshrrev_b32_e32 v14, 16, v3
	v_lshrrev_b32_e32 v13, 16, v0
	s_wait_loadcnt 0x0
	v_mul_f16_e32 v51, v18, v78
	v_mul_f16_e32 v31, v18, v30
	s_delay_alu instid0(VALU_DEP_2) | instskip(SKIP_2) | instid1(VALU_DEP_4)
	v_fmac_f16_e32 v51, v55, v30
	v_mul_f16_e64 v30, v205, v32
	v_mul_f16_e64 v32, v206, v33
	v_fma_f16 v31, v55, v78, -v31
	v_mul_f16_e64 v33, v204, v35
	v_mul_f16_e64 v55, v202, v92
	;; [unrolled: 1-line block ×3, first 2 shown]
	v_fma_f16 v30, v56, v88, -v30
	v_fma_f16 v32, v57, v89, -v32
	v_mul_f16_e64 v56, v203, v93
	v_mul_f16_e64 v57, v201, v94
	v_fma_f16 v33, v58, v91, -v33
	v_fmac_f16_e32 v55, v59, v34
	v_mul_f16_e64 v34, v203, v36
	v_fma_f16 v35, v59, v92, -v35
	v_mul_f16_e64 v58, v199, v95
	v_mul_f16_e64 v59, v200, v96
	v_fmac_f16_e32 v56, v60, v36
	v_mul_f16_e64 v36, v201, v37
	v_fmac_f16_e32 v57, v61, v37
	v_mul_f16_e64 v37, v199, v39
	v_fma_f16 v34, v60, v93, -v34
	v_fmac_f16_e32 v58, v62, v39
	v_mul_f16_e64 v39, v200, v38
	v_mul_f16_e64 v60, v198, v98
	v_fmac_f16_e32 v59, v63, v38
	v_mul_f16_e64 v38, v198, v40
	v_fma_f16 v37, v62, v95, -v37
	v_add_f16_e32 v62, v97, v101
	v_fmac_f16_e32 v60, v64, v40
	v_fma_f16 v39, v63, v96, -v39
	v_fma_f16 v38, v64, v98, -v38
	v_add_f16_e32 v64, v41, v1
	v_add_f16_e32 v63, v10, v97
	v_fma_f16 v10, -0.5, v62, v10
	v_sub_f16_e32 v62, v41, v1
	v_add_f16_e32 v41, v12, v41
	v_fma_f16 v36, v61, v94, -v36
	v_mul_f16_e64 v61, v197, v100
	v_mul_f16_e64 v40, v197, v75
	v_fmac_f16_e32 v12, -0.5, v64
	v_sub_f16_e32 v64, v97, v101
	v_add_f16_e32 v1, v41, v1
	v_add_f16_e32 v41, v45, v42
	v_fmac_f16_e32 v61, v65, v75
	v_fma_f16 v40, v65, v100, -v40
	v_fmamk_f16 v65, v62, 0xbaee, v10
	v_fmac_f16_e32 v10, 0x3aee, v62
	v_fmamk_f16 v62, v64, 0x3aee, v12
	v_fmac_f16_e32 v12, 0xbaee, v64
	v_add_f16_e32 v64, v21, v23
	v_fmac_f16_e32 v11, -0.5, v41
	v_sub_f16_e32 v41, v21, v23
	v_add_f16_e32 v21, v15, v21
	v_sub_f16_e32 v42, v45, v42
	v_fmac_f16_e32 v15, -0.5, v64
	v_add_f16_e32 v64, v4, v43
	v_fmamk_f16 v45, v41, 0xbaee, v11
	v_add_f16_e32 v21, v21, v23
	v_add_f16_e32 v23, v43, v44
	v_fmac_f16_e32 v11, 0x3aee, v41
	v_fmamk_f16 v41, v42, 0x3aee, v15
	v_fmac_f16_e32 v15, 0xbaee, v42
	v_add_f16_e32 v42, v22, v24
	v_fma_f16 v4, -0.5, v23, v4
	v_sub_f16_e32 v23, v22, v24
	v_add_f16_e32 v22, v20, v22
	v_add_f16_e32 v64, v64, v44
	v_fmac_f16_e32 v20, -0.5, v42
	v_sub_f16_e32 v42, v43, v44
	v_fmamk_f16 v43, v23, 0xbaee, v4
	v_fmac_f16_e32 v4, 0x3aee, v23
	v_add_f16_e32 v23, v46, v47
	v_add_f16_e32 v22, v22, v24
	v_fmamk_f16 v24, v42, 0x3aee, v20
	v_fmac_f16_e32 v20, 0xbaee, v42
	v_add_f16_e32 v42, v25, v27
	v_add_f16_e32 v44, v5, v46
	v_fmac_f16_e32 v5, -0.5, v23
	v_sub_f16_e32 v23, v25, v27
	v_add_f16_e32 v25, v69, v25
	v_fmac_f16_e32 v69, -0.5, v42
	v_sub_f16_e32 v42, v46, v47
	v_add_f16_e32 v44, v44, v47
	v_fmamk_f16 v46, v23, 0xbaee, v5
	v_fmac_f16_e32 v5, 0x3aee, v23
	v_add_f16_e32 v23, v25, v27
	v_add_f16_e32 v25, v48, v49
	v_fmamk_f16 v27, v42, 0x3aee, v69
	v_fmac_f16_e32 v69, 0xbaee, v42
	v_add_f16_e32 v42, v26, v28
	v_add_f16_e32 v47, v6, v48
	v_fma_f16 v6, -0.5, v25, v6
	v_sub_f16_e32 v25, v26, v28
	v_add_f16_e32 v26, v72, v26
	v_fmac_f16_e32 v72, -0.5, v42
	v_sub_f16_e32 v42, v48, v49
	v_add_f16_e32 v47, v47, v49
	v_fmamk_f16 v48, v25, 0xbaee, v6
	v_fmac_f16_e32 v6, 0x3aee, v25
	v_add_f16_e32 v25, v26, v28
	v_add_f16_e32 v26, v50, v51
	v_fmamk_f16 v28, v42, 0x3aee, v72
	v_fmac_f16_e32 v72, 0xbaee, v42
	v_add_f16_e32 v42, v29, v31
	v_add_f16_e32 v49, v7, v50
	v_fmac_f16_e32 v7, -0.5, v26
	v_sub_f16_e32 v26, v29, v31
	v_add_f16_e32 v29, v76, v29
	v_fmac_f16_e32 v76, -0.5, v42
	v_sub_f16_e32 v42, v50, v51
	v_add_f16_e32 v49, v49, v51
	v_fmamk_f16 v50, v26, 0xbaee, v7
	v_fmac_f16_e32 v7, 0x3aee, v26
	v_add_f16_e32 v26, v29, v31
	v_add_f16_e32 v29, v52, v53
	v_fmamk_f16 v31, v42, 0x3aee, v76
	v_fmac_f16_e32 v76, 0xbaee, v42
	v_add_f16_e32 v42, v30, v32
	v_add_f16_e32 v51, v8, v52
	v_fma_f16 v8, -0.5, v29, v8
	v_sub_f16_e32 v29, v30, v32
	v_add_f16_e32 v30, v87, v30
	v_fmac_f16_e32 v87, -0.5, v42
	v_sub_f16_e32 v42, v52, v53
	v_add_f16_e32 v51, v51, v53
	;; [unrolled: 28-line block ×3, first 2 shown]
	v_fmamk_f16 v56, v33, 0xbaee, v2
	v_fmac_f16_e32 v2, 0x3aee, v33
	v_add_f16_e32 v33, v34, v36
	v_add_f16_e32 v34, v58, v59
	v_fmamk_f16 v36, v42, 0x3aee, v19
	v_fmac_f16_e32 v19, 0xbaee, v42
	v_add_f16_e32 v42, v37, v39
	v_add_f16_e32 v55, v55, v57
	;; [unrolled: 1-line block ×3, first 2 shown]
	v_fmac_f16_e32 v3, -0.5, v34
	v_sub_f16_e32 v34, v37, v39
	v_add_f16_e32 v37, v14, v37
	v_fmac_f16_e32 v14, -0.5, v42
	v_sub_f16_e32 v42, v58, v59
	v_pack_b32_f16 v1, v63, v1
	v_pack_b32_f16 v10, v10, v12
	;; [unrolled: 1-line block ×4, first 2 shown]
	v_fmamk_f16 v58, v34, 0xbaee, v3
	v_fmac_f16_e32 v3, 0x3aee, v34
	v_add_f16_e32 v34, v37, v39
	v_add_f16_e32 v37, v60, v61
	v_pack_b32_f16 v21, v45, v41
	v_pack_b32_f16 v15, v43, v24
	v_fmamk_f16 v39, v42, 0x3aee, v14
	v_fmac_f16_e32 v14, 0xbaee, v42
	v_add_f16_e32 v42, v38, v40
	v_pack_b32_f16 v22, v64, v22
	v_pack_b32_f16 v23, v44, v23
	ds_store_2addr_b32 v102, v1, v12 offset1:51
	ds_store_2addr_b32 v80, v10, v11 offset0:98 offset1:149
	ds_store_2addr_b32 v82, v21, v15 offset0:100 offset1:151
	v_pack_b32_f16 v1, v4, v20
	v_pack_b32_f16 v5, v5, v69
	;; [unrolled: 1-line block ×6, first 2 shown]
	v_add_f16_e32 v57, v57, v59
	v_add_f16_e32 v59, v0, v60
	v_fmac_f16_e32 v0, -0.5, v37
	v_sub_f16_e32 v37, v38, v40
	v_add_f16_e32 v38, v13, v38
	v_pack_b32_f16 v10, v47, v25
	v_pack_b32_f16 v12, v49, v26
	v_fmac_f16_e32 v13, -0.5, v42
	v_sub_f16_e32 v42, v60, v61
	ds_store_2addr_b32 v102, v22, v23 offset0:102 offset1:153
	ds_store_2addr_b32 v80, v1, v5 offset0:200 offset1:251
	;; [unrolled: 1-line block ×4, first 2 shown]
	v_pack_b32_f16 v1, v50, v31
	v_pack_b32_f16 v5, v52, v32
	ds_store_2addr_b32 v84, v6, v7 offset0:46 offset1:97
	v_pack_b32_f16 v4, v51, v29
	v_pack_b32_f16 v7, v53, v30
	v_add_f16_e32 v59, v59, v61
	v_fmamk_f16 v60, v37, 0xbaee, v0
	v_fmac_f16_e32 v0, 0x3aee, v37
	v_add_f16_e32 v37, v38, v40
	v_pack_b32_f16 v6, v8, v87
	v_pack_b32_f16 v8, v9, v90
	v_fmamk_f16 v38, v42, 0x3aee, v13
	v_fmac_f16_e32 v13, 0xbaee, v42
	v_pack_b32_f16 v9, v54, v35
	v_pack_b32_f16 v10, v56, v36
	ds_store_2addr_b32 v81, v1, v5 offset0:48 offset1:99
	ds_store_2addr_b32 v86, v4, v7 offset0:50 offset1:101
	;; [unrolled: 1-line block ×3, first 2 shown]
	v_pack_b32_f16 v1, v55, v33
	v_pack_b32_f16 v4, v57, v34
	v_pack_b32_f16 v2, v2, v19
	v_pack_b32_f16 v3, v3, v14
	v_pack_b32_f16 v40, v65, v62
	v_pack_b32_f16 v6, v59, v37
	v_pack_b32_f16 v5, v58, v39
	v_pack_b32_f16 v7, v60, v38
	v_pack_b32_f16 v0, v0, v13
	ds_store_2addr_b32 v81, v9, v10 offset0:150 offset1:201
	ds_store_2addr_b32 v86, v1, v4 offset0:152 offset1:203
	;; [unrolled: 1-line block ×5, first 2 shown]
	ds_store_b32 v102, v0 offset:6528
	global_wb scope:SCOPE_SE
	s_wait_dscnt 0x0
	s_barrier_signal -1
	s_barrier_wait -1
	global_inv scope:SCOPE_SE
	ds_load_2addr_b32 v[0:1], v102 offset1:99
	v_lshrrev_b32_e32 v5, 16, v135
	v_lshrrev_b32_e32 v10, 16, v134
	v_lshrrev_b32_e32 v24, 16, v132
	v_lshrrev_b32_e32 v28, 16, v127
	v_lshrrev_b32_e32 v31, 16, v123
	v_lshrrev_b32_e32 v32, 16, v108
	s_wait_dscnt 0x0
	v_lshrrev_b32_e32 v4, 16, v0
	s_delay_alu instid0(VALU_DEP_1) | instskip(NEXT) | instid1(VALU_DEP_1)
	v_mul_f16_e32 v2, v5, v4
	v_fmac_f16_e64 v2, v135, v0
	v_mul_f16_e32 v0, v5, v0
	s_delay_alu instid0(VALU_DEP_2) | instskip(NEXT) | instid1(VALU_DEP_2)
	v_cvt_f32_f16_e32 v2, v2
	v_fma_f16 v0, v135, v4, -v0
	s_delay_alu instid0(VALU_DEP_2) | instskip(NEXT) | instid1(VALU_DEP_2)
	v_cvt_f64_f32_e32 v[2:3], v2
	v_cvt_f32_f16_e32 v0, v0
	s_delay_alu instid0(VALU_DEP_1) | instskip(SKIP_1) | instid1(VALU_DEP_1)
	v_cvt_f64_f32_e32 v[4:5], v0
	v_lshrrev_b32_e32 v0, 16, v1
	v_mul_f16_e32 v6, v10, v0
	s_delay_alu instid0(VALU_DEP_1) | instskip(SKIP_1) | instid1(VALU_DEP_2)
	v_fmac_f16_e64 v6, v134, v1
	v_mul_f16_e32 v1, v10, v1
	v_cvt_f32_f16_e32 v6, v6
	s_delay_alu instid0(VALU_DEP_2) | instskip(NEXT) | instid1(VALU_DEP_1)
	v_fma_f16 v0, v134, v0, -v1
	v_cvt_f32_f16_e32 v0, v0
	s_wait_alu 0xfffe
	v_mul_f64_e32 v[2:3], s[8:9], v[2:3]
	v_mul_f64_e32 v[4:5], s[8:9], v[4:5]
	s_delay_alu instid0(VALU_DEP_2) | instskip(SKIP_2) | instid1(VALU_DEP_3)
	v_and_or_b32 v2, 0x1ff, v3, v2
	v_lshrrev_b32_e32 v7, 8, v3
	v_bfe_u32 v8, v3, 20, 11
	v_cmp_ne_u32_e64 s0, 0, v2
	v_and_or_b32 v4, 0x1ff, v5, v4
	s_delay_alu instid0(VALU_DEP_3)
	v_add_nc_u32_e32 v14, 0xfffffc10, v8
	v_bfe_u32 v11, v5, 20, 11
	s_wait_alu 0xf1ff
	v_cndmask_b32_e64 v2, 0, 1, s0
	v_cmp_ne_u32_e64 s0, 0, v4
	v_lshrrev_b32_e32 v4, 8, v5
	s_delay_alu instid0(VALU_DEP_3) | instskip(SKIP_2) | instid1(VALU_DEP_3)
	v_and_or_b32 v12, 0xffe, v7, v2
	v_sub_nc_u32_e32 v2, 0x3f1, v8
	v_cvt_f64_f32_e32 v[6:7], v6
	v_or_b32_e32 v9, 0x1000, v12
	s_delay_alu instid0(VALU_DEP_3) | instskip(NEXT) | instid1(VALU_DEP_1)
	v_med3_i32 v2, v2, 0, 13
	v_lshrrev_b32_e32 v10, v2, v9
	s_delay_alu instid0(VALU_DEP_1) | instskip(SKIP_2) | instid1(VALU_DEP_2)
	v_lshlrev_b32_e32 v1, v2, v10
	s_wait_alu 0xf1ff
	v_cndmask_b32_e64 v2, 0, 1, s0
	v_cmp_ne_u32_e64 s0, v1, v9
	scratch_load_b64 v[8:9], off, off th:TH_LOAD_LU ; 8-byte Folded Reload
	v_and_or_b32 v15, 0xffe, v4, v2
	v_sub_nc_u32_e32 v2, 0x3f1, v11
	v_cvt_f64_f32_e32 v[0:1], v0
	s_wait_alu 0xf1ff
	v_cndmask_b32_e64 v13, 0, 1, s0
	v_cmp_gt_i32_e64 s0, 1, v14
	v_med3_i32 v19, v2, 0, 13
	s_delay_alu instid0(VALU_DEP_3) | instskip(SKIP_2) | instid1(VALU_DEP_2)
	v_or_b32_e32 v4, v10, v13
	v_or_b32_e32 v13, 0x1000, v15
	v_lshl_or_b32 v10, v14, 12, v12
	v_lshrrev_b32_e32 v21, v19, v13
	s_wait_alu 0xf1ff
	s_delay_alu instid0(VALU_DEP_2) | instskip(SKIP_3) | instid1(VALU_DEP_4)
	v_cndmask_b32_e64 v20, v10, v4, s0
	v_add_nc_u32_e32 v4, 0x200, v102
	v_mul_f64_e32 v[6:7], s[8:9], v[6:7]
	v_lshlrev_b32_e32 v19, v19, v21
	v_and_b32_e32 v22, 7, v20
	s_delay_alu instid0(VALU_DEP_2) | instskip(NEXT) | instid1(VALU_DEP_2)
	v_cmp_ne_u32_e64 s1, v19, v13
	v_cmp_lt_i32_e64 s0, 5, v22
	v_add_nc_u32_e32 v13, 0xfffffc10, v11
	s_delay_alu instid0(VALU_DEP_1) | instskip(SKIP_1) | instid1(VALU_DEP_1)
	v_lshl_or_b32 v19, v13, 12, v15
	v_mul_f64_e32 v[0:1], s[8:9], v[0:1]
	v_and_or_b32 v0, 0x1ff, v1, v0
	v_bfe_u32 v25, v1, 20, 11
	s_wait_loadcnt 0x0
	v_mov_b32_e32 v18, v8
	s_delay_alu instid0(VALU_DEP_1) | instskip(NEXT) | instid1(VALU_DEP_1)
	v_mad_co_u64_u32 v[8:9], null, s6, v18, 0
	v_mov_b32_e32 v2, v9
	s_delay_alu instid0(VALU_DEP_1)
	v_mad_co_u64_u32 v[9:10], null, s7, v18, v[2:3]
	s_wait_alu 0xf1ff
	v_cndmask_b32_e64 v2, 0, 1, s1
	v_cmp_eq_u32_e64 s1, 3, v22
	v_lshrrev_b32_e32 v18, 2, v20
	ds_load_2addr_b32 v[10:11], v4 offset0:70 offset1:169
	v_bfe_u32 v20, v7, 20, 11
	v_or_b32_e32 v2, v21, v2
	s_or_b32 s0, s1, s0
	s_wait_alu 0xfffe
	v_add_co_ci_u32_e64 v18, s0, 0, v18, s0
	v_cmp_ne_u32_e64 s0, 0, v12
	s_wait_alu 0xf1ff
	s_delay_alu instid0(VALU_DEP_1) | instskip(SKIP_1) | instid1(VALU_DEP_2)
	v_cndmask_b32_e64 v12, 0, 1, s0
	v_cmp_gt_i32_e64 s0, 1, v13
	v_lshl_or_b32 v12, v12, 9, 0x7c00
	s_wait_alu 0xf1ff
	s_delay_alu instid0(VALU_DEP_2) | instskip(SKIP_1) | instid1(VALU_DEP_2)
	v_cndmask_b32_e64 v2, v19, v2, s0
	v_cmp_gt_i32_e64 s0, 31, v14
	v_and_b32_e32 v19, 7, v2
	s_wait_alu 0xf1ff
	s_delay_alu instid0(VALU_DEP_2)
	v_cndmask_b32_e64 v18, 0x7c00, v18, s0
	v_cmp_eq_u32_e64 s0, 0x40f, v14
	v_lshrrev_b32_e32 v2, 2, v2
	s_wait_dscnt 0x0
	v_lshrrev_b32_e32 v14, 16, v10
	v_cmp_eq_u32_e64 s1, 3, v19
	s_wait_alu 0xf1ff
	v_cndmask_b32_e64 v12, v18, v12, s0
	v_cmp_lt_i32_e64 s0, 5, v19
	v_lshrrev_b32_e32 v18, 16, v3
	v_and_or_b32 v3, 0x1ff, v7, v6
	v_mul_f16_e32 v6, v24, v14
	v_lshrrev_b32_e32 v19, 8, v7
	s_or_b32 s0, s1, s0
	v_and_or_b32 v18, 0x8000, v18, v12
	s_wait_alu 0xfffe
	v_add_co_ci_u32_e64 v2, s0, 0, v2, s0
	v_cmp_ne_u32_e64 s0, 0, v15
	v_fmac_f16_e64 v6, v132, v10
	v_mul_f16_e32 v10, v24, v10
	v_lshrrev_b32_e32 v24, 8, v1
	v_lshrrev_b32_e32 v7, 16, v7
	s_wait_alu 0xf1ff
	v_cndmask_b32_e64 v15, 0, 1, s0
	v_cmp_ne_u32_e64 s0, 0, v3
	v_cvt_f32_f16_e32 v6, v6
	v_fma_f16 v10, v132, v14, -v10
	s_delay_alu instid0(VALU_DEP_4) | instskip(SKIP_4) | instid1(VALU_DEP_3)
	v_lshl_or_b32 v15, v15, 9, 0x7c00
	s_wait_alu 0xf1ff
	v_cndmask_b32_e64 v3, 0, 1, s0
	v_cmp_gt_i32_e64 s0, 31, v13
	v_cvt_f32_f16_e32 v10, v10
	v_and_or_b32 v22, 0xffe, v19, v3
	s_wait_alu 0xf1ff
	s_delay_alu instid0(VALU_DEP_3)
	v_cndmask_b32_e64 v21, 0x7c00, v2, s0
	v_cvt_f64_f32_e32 v[2:3], v6
	v_sub_nc_u32_e32 v19, 0x3f1, v20
	v_cmp_eq_u32_e64 s0, 0x40f, v13
	v_or_b32_e32 v12, 0x1000, v22
	v_add_nc_u32_e32 v20, 0xfffffc10, v20
	s_delay_alu instid0(VALU_DEP_4)
	v_med3_i32 v13, v19, 0, 13
	s_wait_alu 0xf1ff
	v_cndmask_b32_e64 v21, v21, v15, s0
	v_cmp_ne_u32_e64 s0, 0, v0
	v_lshrrev_b32_e32 v19, 16, v5
	v_mad_co_u64_u32 v[5:6], null, s4, v130, 0
	v_lshrrev_b32_e32 v23, v13, v12
	s_wait_alu 0xf1ff
	v_cndmask_b32_e64 v15, 0, 1, s0
	v_and_or_b32 v21, 0x8000, v19, v21
	s_delay_alu instid0(VALU_DEP_3) | instskip(NEXT) | instid1(VALU_DEP_3)
	v_dual_mov_b32 v0, v6 :: v_dual_lshlrev_b32 v13, v13, v23
	v_and_or_b32 v24, 0xffe, v24, v15
	v_sub_nc_u32_e32 v6, 0x3f1, v25
	s_delay_alu instid0(VALU_DEP_3) | instskip(SKIP_1) | instid1(VALU_DEP_4)
	v_cmp_ne_u32_e64 s0, v13, v12
	v_cvt_f64_f32_e32 v[12:13], v10
	v_or_b32_e32 v27, 0x1000, v24
	s_delay_alu instid0(VALU_DEP_4)
	v_med3_i32 v6, v6, 0, 13
	v_mad_co_u64_u32 v[14:15], null, s5, v130, v[0:1]
	s_wait_alu 0xf1ff
	v_cndmask_b32_e64 v26, 0, 1, s0
	v_lshl_or_b32 v10, v20, 12, v22
	v_lshrrev_b32_e32 v15, v6, v27
	v_cmp_gt_i32_e64 s0, 1, v20
	s_delay_alu instid0(VALU_DEP_4) | instskip(SKIP_3) | instid1(VALU_DEP_3)
	v_or_b32_e32 v0, v23, v26
	v_and_b32_e32 v23, 0xffff, v18
	v_mul_f64_e32 v[18:19], s[8:9], v[2:3]
	s_wait_alu 0xf1ff
	v_cndmask_b32_e64 v0, v10, v0, s0
	v_lshlrev_b32_e32 v10, v6, v15
	v_mov_b32_e32 v6, v14
	v_lshlrev_b64_e32 v[2:3], 2, v[8:9]
	v_lshl_or_b32 v21, v21, 16, v23
	v_and_b32_e32 v14, 7, v0
	v_cmp_ne_u32_e64 s0, v10, v27
	v_add_nc_u32_e32 v23, 0xfffffc10, v25
	v_lshrrev_b32_e32 v0, 2, v0
	v_add_co_u32 v2, s2, s10, v2
	s_wait_alu 0xf1ff
	v_cndmask_b32_e64 v10, 0, 1, s0
	v_cmp_lt_i32_e64 s0, 5, v14
	v_cmp_eq_u32_e64 s1, 3, v14
	v_add_co_ci_u32_e64 v3, s2, s11, v3, s2
	s_delay_alu instid0(VALU_DEP_4)
	v_or_b32_e32 v8, v15, v10
	v_lshl_or_b32 v9, v23, 12, v24
	v_cmp_gt_i32_e64 s2, 1, v23
	s_or_b32 s0, s1, s0
	v_lshrrev_b32_e32 v25, 16, v129
	s_wait_alu 0xfffe
	v_add_co_ci_u32_e64 v0, s0, 0, v0, s0
	v_cmp_ne_u32_e64 s0, 0, v22
	v_cndmask_b32_e64 v10, v9, v8, s2
	v_mul_f64_e32 v[8:9], s[8:9], v[12:13]
	v_lshrrev_b32_e32 v22, 16, v11
	v_cmp_eq_u32_e64 s2, 0x40f, v20
	s_wait_alu 0xf1ff
	v_cndmask_b32_e64 v14, 0, 1, s0
	v_cmp_gt_i32_e64 s0, 31, v20
	v_and_b32_e32 v15, 7, v10
	v_mul_f16_e32 v13, v25, v22
	v_lshrrev_b32_e32 v10, 2, v10
	v_lshl_or_b32 v12, v14, 9, 0x7c00
	s_wait_alu 0xf1ff
	v_cndmask_b32_e64 v0, 0x7c00, v0, s0
	v_cmp_lt_i32_e64 s0, 5, v15
	v_cmp_eq_u32_e64 s1, 3, v15
	v_fmac_f16_e64 v13, v129, v11
	v_lshrrev_b32_e32 v15, 8, v19
	v_cndmask_b32_e64 v0, v0, v12, s2
	v_and_or_b32 v12, 0x1ff, v19, v18
	s_or_b32 s0, s1, s0
	v_cvt_f32_f16_e32 v13, v13
	s_wait_alu 0xfffe
	v_add_co_ci_u32_e64 v10, s0, 0, v10, s0
	v_cmp_ne_u32_e64 s0, 0, v12
	v_bfe_u32 v18, v19, 20, 11
	v_cvt_f64_f32_e32 v[12:13], v13
	v_and_or_b32 v7, 0x8000, v7, v0
	s_wait_alu 0xf1ff
	v_cndmask_b32_e64 v14, 0, 1, s0
	v_cmp_ne_u32_e64 s0, 0, v24
	s_delay_alu instid0(VALU_DEP_2) | instskip(SKIP_1) | instid1(VALU_DEP_2)
	v_and_or_b32 v14, 0xffe, v15, v14
	s_wait_alu 0xf1ff
	v_cndmask_b32_e64 v20, 0, 1, s0
	v_sub_nc_u32_e32 v15, 0x3f1, v18
	v_cmp_gt_i32_e64 s0, 31, v23
	v_add_nc_u32_e32 v18, 0xfffffc10, v18
	v_or_b32_e32 v24, 0x1000, v14
	v_lshl_or_b32 v20, v20, 9, 0x7c00
	v_med3_i32 v15, v15, 0, 13
	s_wait_alu 0xf1ff
	v_cndmask_b32_e64 v10, 0x7c00, v10, s0
	v_cmp_eq_u32_e64 s0, 0x40f, v23
	v_and_b32_e32 v23, 0xffff, v7
	v_mul_f16_e32 v7, v25, v11
	v_lshl_or_b32 v25, v18, 12, v14
	s_wait_alu 0xf1ff
	v_cndmask_b32_e64 v10, v10, v20, s0
	v_lshrrev_b32_e32 v20, 16, v1
	v_lshlrev_b64_e32 v[0:1], 2, v[5:6]
	v_lshrrev_b32_e32 v5, v15, v24
	v_and_or_b32 v6, 0x1ff, v9, v8
	v_fma_f16 v7, v129, v22, -v7
	v_and_or_b32 v20, 0x8000, v20, v10
	v_lshrrev_b32_e32 v10, 8, v9
	v_lshlrev_b32_e32 v8, v15, v5
	v_cmp_ne_u32_e64 s0, 0, v6
	v_bfe_u32 v15, v9, 20, 11
	v_cvt_f32_f16_e32 v7, v7
	v_lshl_or_b32 v20, v20, 16, v23
	s_wait_alu 0xf1ff
	v_cndmask_b32_e64 v6, 0, 1, s0
	v_cmp_ne_u32_e64 s0, v8, v24
	s_delay_alu instid0(VALU_DEP_2) | instskip(SKIP_1) | instid1(VALU_DEP_2)
	v_and_or_b32 v22, 0xffe, v10, v6
	s_wait_alu 0xf1ff
	v_cndmask_b32_e64 v8, 0, 1, s0
	v_sub_nc_u32_e32 v10, 0x3f1, v15
	v_cmp_gt_i32_e64 s0, 1, v18
	v_add_nc_u32_e32 v15, 0xfffffc10, v15
	v_or_b32_e32 v26, 0x1000, v22
	v_or_b32_e32 v24, v5, v8
	v_cvt_f64_f32_e32 v[5:6], v7
	v_med3_i32 v27, v10, 0, 13
	ds_load_2addr_b32 v[7:8], v86 offset0:140 offset1:239
	v_mul_f64_e32 v[10:11], s[8:9], v[12:13]
	s_wait_alu 0xf1ff
	v_cndmask_b32_e64 v12, v25, v24, s0
	v_add_co_u32 v0, s0, v2, v0
	v_lshrrev_b32_e32 v13, v27, v26
	s_wait_alu 0xf1ff
	v_add_co_ci_u32_e64 v1, s0, v3, v1, s0
	v_and_b32_e32 v24, 7, v12
	s_mul_u64 s[0:1], s[4:5], 0x63
	v_lshlrev_b32_e32 v23, v27, v13
	s_wait_alu 0xfffe
	s_lshl_b64 s[6:7], s[0:1], 2
	v_lshrrev_b32_e32 v12, 2, v12
	v_cmp_lt_i32_e64 s0, 5, v24
	v_cmp_eq_u32_e64 s1, 3, v24
	v_cmp_ne_u32_e64 s2, v23, v26
	s_delay_alu instid0(VALU_DEP_2) | instskip(NEXT) | instid1(VALU_DEP_1)
	s_or_b32 s0, s1, s0
	v_cndmask_b32_e64 v23, 0, 1, s2
	s_wait_alu 0xfffe
	v_add_co_ci_u32_e64 v12, s0, 0, v12, s0
	s_wait_dscnt 0x0
	v_lshrrev_b32_e32 v24, 16, v7
	v_cmp_ne_u32_e64 s0, 0, v14
	v_or_b32_e32 v13, v13, v23
	v_lshl_or_b32 v23, v15, 12, v22
	s_delay_alu instid0(VALU_DEP_4) | instskip(SKIP_3) | instid1(VALU_DEP_3)
	v_mul_f16_e32 v25, v28, v24
	s_wait_alu 0xf1ff
	v_cndmask_b32_e64 v14, 0, 1, s0
	v_cmp_gt_i32_e64 s0, 1, v15
	v_fmac_f16_e32 v25, v127, v7
	v_mul_f16_e32 v7, v28, v7
	s_wait_alu 0xf1ff
	s_delay_alu instid0(VALU_DEP_3)
	v_cndmask_b32_e64 v23, v23, v13, s0
	v_cmp_gt_i32_e64 s0, 31, v18
	v_lshl_or_b32 v13, v14, 9, 0x7c00
	v_mul_f64_e32 v[5:6], s[8:9], v[5:6]
	v_cvt_f32_f16_e32 v14, v25
	v_and_b32_e32 v25, 7, v23
	s_wait_alu 0xf1ff
	v_cndmask_b32_e64 v12, 0x7c00, v12, s0
	v_cmp_eq_u32_e64 s0, 0x40f, v18
	v_and_or_b32 v10, 0x1ff, v11, v10
	v_fma_f16 v7, v127, v24, -v7
	v_cmp_eq_u32_e64 s1, 3, v25
	s_wait_alu 0xf1ff
	v_cndmask_b32_e64 v18, v12, v13, s0
	v_cmp_lt_i32_e64 s0, 5, v25
	v_cvt_f64_f32_e32 v[12:13], v14
	v_lshrrev_b32_e32 v14, 16, v19
	v_lshrrev_b32_e32 v19, 2, v23
	v_cmp_ne_u32_e64 s2, 0, v10
	s_or_b32 s0, s1, s0
	v_lshrrev_b32_e32 v23, 8, v11
	v_bfe_u32 v25, v11, 20, 11
	s_wait_alu 0xfffe
	v_add_co_ci_u32_e64 v19, s0, 0, v19, s0
	v_cndmask_b32_e64 v10, 0, 1, s2
	v_cmp_ne_u32_e64 s0, 0, v22
	v_and_or_b32 v14, 0x8000, v14, v18
	v_lshrrev_b32_e32 v18, 16, v9
	v_cvt_f32_f16_e32 v7, v7
	v_and_or_b32 v23, 0xffe, v23, v10
	s_wait_alu 0xf1ff
	v_cndmask_b32_e64 v22, 0, 1, s0
	v_sub_nc_u32_e32 v10, 0x3f1, v25
	v_cmp_gt_i32_e64 s0, 31, v15
	v_lshrrev_b32_e32 v11, 16, v11
	v_or_b32_e32 v26, 0x1000, v23
	v_lshl_or_b32 v22, v22, 9, 0x7c00
	v_med3_i32 v27, v10, 0, 13
	s_wait_alu 0xf1ff
	v_cndmask_b32_e64 v19, 0x7c00, v19, s0
	v_cmp_eq_u32_e64 s0, 0x40f, v15
	v_and_or_b32 v5, 0x1ff, v6, v5
	s_wait_alu 0xf1ff
	s_delay_alu instid0(VALU_DEP_2) | instskip(SKIP_4) | instid1(VALU_DEP_3)
	v_cndmask_b32_e64 v15, v19, v22, s0
	v_lshrrev_b32_e32 v19, v27, v26
	v_add_co_u32 v9, s0, v0, s6
	s_wait_alu 0xf1ff
	v_add_co_ci_u32_e64 v10, s0, s7, v1, s0
	v_lshlrev_b32_e32 v22, v27, v19
	v_and_b32_e32 v27, 0xffff, v14
	v_and_or_b32 v18, 0x8000, v18, v15
	v_lshrrev_b32_e32 v15, 8, v6
	v_mul_f64_e32 v[12:13], s[8:9], v[12:13]
	v_cmp_ne_u32_e64 s0, v22, v26
	v_add_nc_u32_e32 v22, 0xfffffc10, v25
	v_bfe_u32 v24, v6, 20, 11
	s_clause 0x1
	global_store_b32 v[0:1], v21, off
	global_store_b32 v[9:10], v20, off
	v_lshl_or_b32 v20, v18, 16, v27
	s_wait_alu 0xf1ff
	v_cndmask_b32_e64 v14, 0, 1, s0
	v_cmp_ne_u32_e64 s0, 0, v5
	v_lshl_or_b32 v25, v22, 12, v23
	v_sub_nc_u32_e32 v26, 0x3f1, v24
	v_lshrrev_b32_e32 v27, 16, v125
	v_or_b32_e32 v19, v19, v14
	s_wait_alu 0xf1ff
	v_cndmask_b32_e64 v5, 0, 1, s0
	v_cmp_gt_i32_e64 s0, 1, v22
	s_delay_alu instid0(VALU_DEP_2) | instskip(SKIP_2) | instid1(VALU_DEP_3)
	v_and_or_b32 v5, 0xffe, v15, v5
	v_cvt_f64_f32_e32 v[14:15], v7
	s_wait_alu 0xf1ff
	v_cndmask_b32_e64 v7, v25, v19, s0
	v_med3_i32 v25, v26, 0, 13
	v_add_co_u32 v0, s0, v9, s6
	v_or_b32_e32 v19, 0x1000, v5
	s_delay_alu instid0(VALU_DEP_4)
	v_and_b32_e32 v18, 7, v7
	s_wait_alu 0xf1ff
	v_add_co_ci_u32_e64 v1, s0, s7, v10, s0
	v_lshrrev_b32_e32 v7, 2, v7
	v_lshrrev_b32_e32 v21, v25, v19
	v_cmp_lt_i32_e64 s0, 5, v18
	v_cmp_eq_u32_e64 s1, 3, v18
	v_lshrrev_b32_e32 v18, 16, v8
	s_delay_alu instid0(VALU_DEP_4) | instskip(NEXT) | instid1(VALU_DEP_3)
	v_lshlrev_b32_e32 v9, v25, v21
	s_or_b32 s0, s1, s0
	s_delay_alu instid0(VALU_DEP_2)
	v_mul_f16_e32 v10, v27, v18
	s_wait_alu 0xfffe
	v_add_co_ci_u32_e64 v7, s0, 0, v7, s0
	v_cmp_ne_u32_e64 s2, v9, v19
	v_add_nc_u32_e32 v19, 0xfffffc10, v24
	v_cmp_ne_u32_e64 s0, 0, v23
	v_and_or_b32 v12, 0x1ff, v13, v12
	v_fmac_f16_e32 v10, v125, v8
	s_wait_alu 0xf1ff
	v_cndmask_b32_e64 v9, 0, 1, s2
	v_lshrrev_b32_e32 v25, 8, v13
	v_cndmask_b32_e64 v23, 0, 1, s0
	v_cmp_gt_i32_e64 s0, 1, v19
	v_cvt_f32_f16_e32 v24, v10
	v_or_b32_e32 v9, v21, v9
	v_lshl_or_b32 v21, v19, 12, v5
	v_bfe_u32 v26, v13, 20, 11
	v_lshl_or_b32 v23, v23, 9, 0x7c00
	v_mul_f16_e32 v8, v27, v8
	v_cmp_eq_u32_e64 s2, 0x40f, v22
	s_wait_alu 0xf1ff
	v_cndmask_b32_e64 v21, v21, v9, s0
	v_cmp_ne_u32_e64 s0, 0, v12
	v_mul_f64_e32 v[9:10], s[8:9], v[14:15]
	v_cvt_f64_f32_e32 v[14:15], v24
	v_fma_f16 v8, v125, v18, -v8
	v_and_b32_e32 v24, 7, v21
	s_wait_alu 0xf1ff
	v_cndmask_b32_e64 v12, 0, 1, s0
	v_cmp_gt_i32_e64 s0, 31, v22
	v_lshrrev_b32_e32 v13, 16, v13
	v_cvt_f32_f16_e32 v8, v8
	v_cmp_eq_u32_e64 s1, 3, v24
	v_and_or_b32 v25, 0xffe, v25, v12
	s_wait_alu 0xf1ff
	v_cndmask_b32_e64 v7, 0x7c00, v7, s0
	v_sub_nc_u32_e32 v12, 0x3f1, v26
	v_cmp_lt_i32_e64 s0, 5, v24
	v_or_b32_e32 v24, 0x1000, v25
	s_delay_alu instid0(VALU_DEP_4)
	v_cndmask_b32_e64 v18, v7, v23, s2
	v_lshrrev_b32_e32 v7, 2, v21
	v_med3_i32 v12, v12, 0, 13
	s_or_b32 s0, s1, s0
	v_add_nc_u32_e32 v23, 0xfffffc10, v26
	v_and_or_b32 v18, 0x8000, v11, v18
	s_wait_alu 0xfffe
	v_add_co_ci_u32_e64 v22, s0, 0, v7, s0
	v_lshrrev_b32_e32 v21, v12, v24
	v_cmp_ne_u32_e64 s0, 0, v5
	v_cvt_f64_f32_e32 v[7:8], v8
	v_and_b32_e32 v18, 0xffff, v18
	s_delay_alu instid0(VALU_DEP_4) | instskip(SKIP_3) | instid1(VALU_DEP_2)
	v_lshlrev_b32_e32 v12, v12, v21
	s_wait_alu 0xf1ff
	v_cndmask_b32_e64 v5, 0, 1, s0
	v_cmp_gt_i32_e64 s0, 31, v19
	v_lshl_or_b32 v5, v5, 9, 0x7c00
	s_wait_alu 0xf1ff
	s_delay_alu instid0(VALU_DEP_2) | instskip(SKIP_3) | instid1(VALU_DEP_2)
	v_cndmask_b32_e64 v22, 0x7c00, v22, s0
	v_cmp_ne_u32_e64 s0, v12, v24
	v_and_or_b32 v9, 0x1ff, v10, v9
	s_wait_alu 0xf1ff
	v_cndmask_b32_e64 v12, 0, 1, s0
	v_cmp_eq_u32_e64 s0, 0x40f, v19
	s_delay_alu instid0(VALU_DEP_2) | instskip(SKIP_1) | instid1(VALU_DEP_2)
	v_or_b32_e32 v11, v21, v12
	s_wait_alu 0xf1ff
	v_cndmask_b32_e64 v19, v22, v5, s0
	v_lshl_or_b32 v12, v23, 12, v25
	v_cmp_gt_i32_e64 s0, 1, v23
	v_lshrrev_b32_e32 v21, 16, v6
	v_mul_f64_e32 v[5:6], s[8:9], v[14:15]
	v_lshrrev_b32_e32 v15, 8, v10
	v_bfe_u32 v22, v10, 20, 11
	s_wait_alu 0xf1ff
	v_cndmask_b32_e64 v14, v12, v11, s0
	ds_load_2addr_b32 v[11:12], v82 offset0:82 offset1:181
	v_cmp_ne_u32_e64 s0, 0, v9
	v_and_or_b32 v19, 0x8000, v21, v19
	v_lshrrev_b32_e32 v10, 16, v10
	v_and_b32_e32 v24, 7, v14
	v_lshrrev_b32_e32 v14, 2, v14
	s_wait_alu 0xf1ff
	v_cndmask_b32_e64 v9, 0, 1, s0
	v_lshl_or_b32 v26, v19, 16, v18
	v_mul_f64_e32 v[7:8], s[8:9], v[7:8]
	v_cmp_lt_i32_e64 s0, 5, v24
	v_cmp_eq_u32_e64 s1, 3, v24
	v_and_or_b32 v9, 0xffe, v15, v9
	v_sub_nc_u32_e32 v15, 0x3f1, v22
	v_add_nc_u32_e32 v22, 0xfffffc10, v22
	s_delay_alu instid0(VALU_DEP_4) | instskip(NEXT) | instid1(VALU_DEP_3)
	s_or_b32 s0, s1, s0
	v_or_b32_e32 v21, 0x1000, v9
	s_delay_alu instid0(VALU_DEP_3)
	v_med3_i32 v24, v15, 0, 13
	s_wait_alu 0xfffe
	v_add_co_ci_u32_e64 v18, s0, 0, v14, s0
	v_add_co_u32 v14, s0, v0, s6
	s_wait_alu 0xf1ff
	v_add_co_ci_u32_e64 v15, s0, s7, v1, s0
	v_lshrrev_b32_e32 v19, v24, v21
	s_wait_dscnt 0x0
	v_lshrrev_b32_e32 v27, 16, v11
	v_cmp_gt_i32_e64 s0, 31, v23
	s_clause 0x1
	global_store_b32 v[0:1], v20, off
	global_store_b32 v[14:15], v26, off
	v_lshlrev_b32_e32 v24, v24, v19
	s_wait_alu 0xf1ff
	v_cndmask_b32_e64 v28, 0x7c00, v18, s0
	v_mul_f16_e32 v18, v31, v27
	v_cmp_ne_u32_e64 s0, 0, v25
	v_and_or_b32 v5, 0x1ff, v6, v5
	v_lshrrev_b32_e32 v29, 8, v6
	v_bfe_u32 v30, v6, 20, 11
	v_fmac_f16_e32 v18, v123, v11
	s_wait_alu 0xf1ff
	v_cndmask_b32_e64 v25, 0, 1, s0
	v_cmp_ne_u32_e64 s0, v24, v21
	v_mul_f16_e32 v11, v31, v11
	v_lshrrev_b32_e32 v6, 16, v6
	v_cvt_f32_f16_e32 v18, v18
	v_lshl_or_b32 v24, v25, 9, 0x7c00
	s_wait_alu 0xf1ff
	v_cndmask_b32_e64 v21, 0, 1, s0
	v_cmp_ne_u32_e64 s0, 0, v5
	v_lshl_or_b32 v25, v22, 12, v9
	v_and_or_b32 v0, 0x1ff, v8, v7
	v_fma_f16 v11, v123, v27, -v11
	v_or_b32_e32 v21, v19, v21
	v_cvt_f64_f32_e32 v[18:19], v18
	s_wait_alu 0xf1ff
	v_cndmask_b32_e64 v5, 0, 1, s0
	v_cmp_gt_i32_e64 s0, 1, v22
	v_cmp_ne_u32_e64 s2, 0, v0
	v_lshrrev_b32_e32 v31, 16, v119
	s_delay_alu instid0(VALU_DEP_4)
	v_and_or_b32 v5, 0xffe, v29, v5
	s_wait_alu 0xf1ff
	v_cndmask_b32_e64 v21, v25, v21, s0
	v_sub_nc_u32_e32 v25, 0x3f1, v30
	v_cmp_eq_u32_e64 s0, 0x40f, v23
	v_cndmask_b32_e64 v0, 0, 1, s2
	s_delay_alu instid0(VALU_DEP_4) | instskip(NEXT) | instid1(VALU_DEP_4)
	v_lshrrev_b32_e32 v1, 2, v21
	v_med3_i32 v25, v25, 0, 13
	s_wait_alu 0xf1ff
	v_cndmask_b32_e64 v23, v28, v24, s0
	v_or_b32_e32 v24, 0x1000, v5
	v_and_b32_e32 v28, 7, v21
	v_lshrrev_b32_e32 v21, 8, v8
	s_delay_alu instid0(VALU_DEP_4) | instskip(NEXT) | instid1(VALU_DEP_4)
	v_and_or_b32 v13, 0x8000, v13, v23
	v_lshrrev_b32_e32 v20, v25, v24
	s_delay_alu instid0(VALU_DEP_4)
	v_cmp_lt_i32_e64 s0, 5, v28
	v_cmp_eq_u32_e64 s1, 3, v28
	v_bfe_u32 v23, v8, 20, 11
	v_and_or_b32 v21, 0xffe, v21, v0
	v_lshlrev_b32_e32 v7, v25, v20
	v_cvt_f32_f16_e32 v0, v11
	s_or_b32 s0, s1, s0
	v_sub_nc_u32_e32 v26, 0x3f1, v23
	s_wait_alu 0xfffe
	v_add_co_ci_u32_e64 v25, s0, 0, v1, s0
	v_cmp_ne_u32_e64 s0, v7, v24
	v_cvt_f64_f32_e32 v[0:1], v0
	v_add_nc_u32_e32 v11, 0xfffffc10, v30
	v_or_b32_e32 v24, 0x1000, v21
	v_med3_i32 v26, v26, 0, 13
	s_wait_alu 0xf1ff
	v_cndmask_b32_e64 v7, 0, 1, s0
	v_cmp_ne_u32_e64 s0, 0, v9
	v_mul_f64_e32 v[18:19], s[8:9], v[18:19]
	v_add_nc_u32_e32 v23, 0xfffffc10, v23
	v_lshrrev_b32_e32 v27, v26, v24
	v_or_b32_e32 v7, v20, v7
	s_wait_alu 0xf1ff
	v_cndmask_b32_e64 v9, 0, 1, s0
	v_cmp_gt_i32_e64 s0, 31, v22
	v_lshl_or_b32 v20, v11, 12, v5
	v_cmp_gt_i32_e64 s2, 1, v23
	v_lshrrev_b32_e32 v8, 16, v8
	v_lshl_or_b32 v9, v9, 9, 0x7c00
	s_wait_alu 0xf1ff
	v_cndmask_b32_e64 v25, 0x7c00, v25, s0
	v_cmp_gt_i32_e64 s0, 1, v11
	s_wait_alu 0xf1ff
	s_delay_alu instid0(VALU_DEP_1) | instskip(SKIP_2) | instid1(VALU_DEP_3)
	v_cndmask_b32_e64 v7, v20, v7, s0
	v_lshlrev_b32_e32 v20, v26, v27
	v_cmp_eq_u32_e64 s0, 0x40f, v22
	v_and_b32_e32 v22, 7, v7
	v_lshrrev_b32_e32 v7, 2, v7
	s_wait_alu 0xf1ff
	s_delay_alu instid0(VALU_DEP_3) | instskip(SKIP_2) | instid1(VALU_DEP_3)
	v_cndmask_b32_e64 v9, v25, v9, s0
	v_cmp_ne_u32_e64 s0, v20, v24
	v_cmp_eq_u32_e64 s1, 3, v22
	v_and_or_b32 v9, 0x8000, v10, v9
	s_wait_alu 0xf1ff
	s_delay_alu instid0(VALU_DEP_3) | instskip(SKIP_3) | instid1(VALU_DEP_4)
	v_cndmask_b32_e64 v20, 0, 1, s0
	v_cmp_lt_i32_e64 s0, 5, v22
	v_and_b32_e32 v10, 0xffff, v13
	v_mul_f64_e32 v[0:1], s[8:9], v[0:1]
	v_or_b32_e32 v13, v27, v20
	v_lshl_or_b32 v20, v23, 12, v21
	s_or_b32 s0, s1, s0
	v_lshl_or_b32 v22, v9, 16, v10
	s_wait_alu 0xfffe
	v_add_co_ci_u32_e64 v7, s0, 0, v7, s0
	v_cndmask_b32_e64 v9, v20, v13, s2
	v_lshrrev_b32_e32 v13, 16, v12
	v_cmp_ne_u32_e64 s0, 0, v5
	v_lshrrev_b32_e32 v27, 16, v121
	v_and_or_b32 v18, 0x1ff, v19, v18
	v_and_b32_e32 v10, 7, v9
	v_lshrrev_b32_e32 v24, 8, v19
	s_wait_alu 0xf1ff
	v_cndmask_b32_e64 v5, 0, 1, s0
	v_mul_f16_e32 v20, v27, v13
	v_cmp_gt_i32_e64 s0, 31, v11
	v_cmp_ne_u32_e64 s1, 0, v18
	v_lshrrev_b32_e32 v26, 2, v9
	v_bfe_u32 v25, v19, 20, 11
	v_fmac_f16_e32 v20, v121, v12
	s_wait_alu 0xf1ff
	v_cndmask_b32_e64 v7, 0x7c00, v7, s0
	v_cmp_lt_i32_e64 s0, 5, v10
	v_cndmask_b32_e64 v18, 0, 1, s1
	v_cmp_eq_u32_e64 s1, 3, v10
	v_cvt_f32_f16_e32 v20, v20
	v_lshl_or_b32 v5, v5, 9, 0x7c00
	v_lshrrev_b32_e32 v19, 16, v19
	v_and_or_b32 v18, 0xffe, v24, v18
	s_or_b32 s0, s1, s0
	v_cvt_f64_f32_e32 v[9:10], v20
	s_wait_alu 0xfffe
	v_add_co_ci_u32_e64 v24, s0, 0, v26, s0
	v_cmp_ne_u32_e64 s0, 0, v21
	v_sub_nc_u32_e32 v20, 0x3f1, v25
	v_or_b32_e32 v26, 0x1000, v18
	v_and_or_b32 v0, 0x1ff, v1, v0
	s_wait_alu 0xf1ff
	v_cndmask_b32_e64 v21, 0, 1, s0
	v_cmp_gt_i32_e64 s0, 31, v23
	v_med3_i32 v20, v20, 0, 13
	s_delay_alu instid0(VALU_DEP_3) | instskip(SKIP_1) | instid1(VALU_DEP_3)
	v_lshl_or_b32 v21, v21, 9, 0x7c00
	s_wait_alu 0xf1ff
	v_cndmask_b32_e64 v24, 0x7c00, v24, s0
	v_cmp_eq_u32_e64 s0, 0x40f, v11
	s_wait_alu 0xf1ff
	s_delay_alu instid0(VALU_DEP_1) | instskip(SKIP_2) | instid1(VALU_DEP_2)
	v_cndmask_b32_e64 v5, v7, v5, s0
	v_lshrrev_b32_e32 v7, v20, v26
	v_cmp_eq_u32_e64 s0, 0x40f, v23
	v_lshlrev_b32_e32 v20, v20, v7
	s_wait_alu 0xf1ff
	s_delay_alu instid0(VALU_DEP_2)
	v_cndmask_b32_e64 v11, v24, v21, s0
	v_and_or_b32 v21, 0x8000, v6, v5
	v_mul_f16_e32 v5, v27, v12
	v_add_nc_u32_e32 v24, 0xfffffc10, v25
	v_cmp_ne_u32_e64 s0, v20, v26
	v_and_or_b32 v23, 0x8000, v8, v11
	v_lshrrev_b32_e32 v8, 8, v1
	v_fma_f16 v5, v121, v13, -v5
	v_bfe_u32 v20, v1, 20, 11
	s_wait_alu 0xf1ff
	v_cndmask_b32_e64 v6, 0, 1, s0
	v_cmp_ne_u32_e64 s0, 0, v0
	v_lshl_or_b32 v13, v24, 12, v18
	v_cvt_f32_f16_e32 v5, v5
	v_sub_nc_u32_e32 v12, 0x3f1, v20
	v_or_b32_e32 v11, v7, v6
	s_wait_alu 0xf1ff
	v_cndmask_b32_e64 v0, 0, 1, s0
	v_cmp_gt_i32_e64 s0, 1, v24
	v_cvt_f64_f32_e32 v[5:6], v5
	v_med3_i32 v26, v12, 0, 13
	v_and_b32_e32 v21, 0xffff, v21
	v_and_or_b32 v0, 0xffe, v8, v0
	v_mul_f64_e32 v[7:8], s[8:9], v[9:10]
	ds_load_2addr_b32 v[9:10], v81 offset0:24 offset1:123
	s_wait_alu 0xf1ff
	v_cndmask_b32_e64 v27, v13, v11, s0
	v_add_co_u32 v11, s0, v14, s6
	v_or_b32_e32 v25, 0x1000, v0
	s_wait_alu 0xf1ff
	v_add_co_ci_u32_e64 v12, s0, s7, v15, s0
	v_lshl_or_b32 v15, v23, 16, v21
	v_and_b32_e32 v21, 7, v27
	v_lshrrev_b32_e32 v28, v26, v25
	v_add_co_u32 v13, s0, v11, s6
	s_wait_alu 0xf1ff
	v_add_co_ci_u32_e64 v14, s0, s7, v12, s0
	s_delay_alu instid0(VALU_DEP_3)
	v_lshlrev_b32_e32 v23, v26, v28
	v_cmp_lt_i32_e64 s0, 5, v21
	v_cmp_eq_u32_e64 s1, 3, v21
	v_lshrrev_b32_e32 v21, 2, v27
	v_add_nc_u32_e32 v26, 0xfffffc10, v20
	v_cmp_ne_u32_e64 s2, v23, v25
	s_wait_dscnt 0x0
	v_lshrrev_b32_e32 v25, 16, v9
	s_or_b32 s0, s1, s0
	global_store_b32 v[11:12], v22, off
	global_store_b32 v[13:14], v15, off
	s_wait_alu 0xfffe
	v_add_co_ci_u32_e64 v20, s0, 0, v21, s0
	v_cndmask_b32_e64 v23, 0, 1, s2
	v_cmp_ne_u32_e64 s0, 0, v18
	v_mul_f16_e32 v21, v31, v25
	v_lshl_or_b32 v27, v26, 12, v0
	s_delay_alu instid0(VALU_DEP_4)
	v_or_b32_e32 v23, v28, v23
	s_wait_alu 0xf1ff
	v_cndmask_b32_e64 v18, 0, 1, s0
	v_cmp_gt_i32_e64 s0, 1, v26
	v_fmac_f16_e32 v21, v119, v9
	v_mul_f64_e32 v[5:6], s[8:9], v[5:6]
	v_mul_f16_e32 v9, v31, v9
	v_lshl_or_b32 v18, v18, 9, 0x7c00
	s_wait_alu 0xf1ff
	v_cndmask_b32_e64 v23, v27, v23, s0
	v_and_or_b32 v7, 0x1ff, v8, v7
	v_cmp_gt_i32_e64 s0, 31, v24
	v_cvt_f32_f16_e32 v21, v21
	v_lshrrev_b32_e32 v29, 8, v8
	v_and_b32_e32 v28, 7, v23
	v_bfe_u32 v30, v8, 20, 11
	s_wait_alu 0xf1ff
	v_cndmask_b32_e64 v27, 0x7c00, v20, s0
	v_cmp_ne_u32_e64 s0, 0, v7
	v_cvt_f64_f32_e32 v[20:21], v21
	v_cmp_eq_u32_e64 s1, 3, v28
	v_lshrrev_b32_e32 v23, 2, v23
	v_fma_f16 v9, v119, v25, -v9
	s_wait_alu 0xf1ff
	v_cndmask_b32_e64 v7, 0, 1, s0
	v_cmp_eq_u32_e64 s0, 0x40f, v24
	v_sub_nc_u32_e32 v24, 0x3f1, v30
	s_delay_alu instid0(VALU_DEP_3) | instskip(SKIP_1) | instid1(VALU_DEP_3)
	v_and_or_b32 v7, 0xffe, v29, v7
	s_wait_alu 0xf1ff
	v_cndmask_b32_e64 v18, v27, v18, s0
	v_cmp_lt_i32_e64 s0, 5, v28
	v_med3_i32 v24, v24, 0, 13
	v_or_b32_e32 v27, 0x1000, v7
	s_delay_alu instid0(VALU_DEP_4) | instskip(NEXT) | instid1(VALU_DEP_4)
	v_and_or_b32 v29, 0x8000, v19, v18
	s_or_b32 s0, s1, s0
	s_wait_alu 0xfffe
	v_add_co_ci_u32_e64 v23, s0, 0, v23, s0
	v_cmp_ne_u32_e64 s0, 0, v0
	v_lshrrev_b32_e32 v28, v24, v27
	s_wait_alu 0xf1ff
	s_delay_alu instid0(VALU_DEP_2) | instskip(SKIP_1) | instid1(VALU_DEP_3)
	v_cndmask_b32_e64 v0, 0, 1, s0
	v_cmp_gt_i32_e64 s0, 31, v26
	v_lshlrev_b32_e32 v18, v24, v28
	v_lshrrev_b32_e32 v24, 16, v1
	v_cvt_f32_f16_e32 v1, v9
	v_lshl_or_b32 v0, v0, 9, 0x7c00
	s_wait_alu 0xf1ff
	v_cndmask_b32_e64 v23, 0x7c00, v23, s0
	v_cmp_eq_u32_e64 s0, 0x40f, v26
	v_add_nc_u32_e32 v9, 0xfffffc10, v30
	v_and_b32_e32 v26, 0xffff, v29
	v_lshrrev_b32_e32 v30, 16, v114
	s_wait_alu 0xf1ff
	v_cndmask_b32_e64 v23, v23, v0, s0
	v_and_or_b32 v0, 0x1ff, v6, v5
	v_cmp_ne_u32_e64 s0, v18, v27
	v_mul_f64_e32 v[18:19], s[8:9], v[20:21]
	v_lshrrev_b32_e32 v20, 8, v6
	v_bfe_u32 v21, v6, 20, 11
	v_and_or_b32 v23, 0x8000, v24, v23
	s_wait_alu 0xf1ff
	v_cndmask_b32_e64 v5, 0, 1, s0
	v_cmp_ne_u32_e64 s0, 0, v0
	v_cvt_f64_f32_e32 v[0:1], v1
	v_lshl_or_b32 v24, v9, 12, v7
	v_lshl_or_b32 v15, v23, 16, v26
	v_or_b32_e32 v5, v28, v5
	s_wait_alu 0xf1ff
	v_cndmask_b32_e64 v25, 0, 1, s0
	v_cmp_gt_i32_e64 s0, 1, v9
	v_lshrrev_b32_e32 v28, 16, v117
	v_lshrrev_b32_e32 v6, 16, v6
	s_delay_alu instid0(VALU_DEP_4)
	v_and_or_b32 v20, 0xffe, v20, v25
	v_sub_nc_u32_e32 v25, 0x3f1, v21
	s_wait_alu 0xf1ff
	v_cndmask_b32_e64 v5, v24, v5, s0
	v_add_co_u32 v11, s0, v13, s6
	v_or_b32_e32 v24, 0x1000, v20
	v_med3_i32 v25, v25, 0, 13
	s_delay_alu instid0(VALU_DEP_4)
	v_and_b32_e32 v22, 7, v5
	s_wait_alu 0xf1ff
	v_add_co_ci_u32_e64 v12, s0, s7, v14, s0
	v_lshrrev_b32_e32 v5, 2, v5
	v_lshrrev_b32_e32 v23, v25, v24
	v_cmp_lt_i32_e64 s0, 5, v22
	v_cmp_eq_u32_e64 s1, 3, v22
	v_lshrrev_b32_e32 v22, 16, v10
	v_add_nc_u32_e32 v21, 0xfffffc10, v21
	v_lshlrev_b32_e32 v13, v25, v23
	global_store_b32 v[11:12], v15, off
	s_or_b32 s0, s1, s0
	v_mul_f16_e32 v14, v28, v22
	s_wait_alu 0xfffe
	v_add_co_ci_u32_e64 v5, s0, 0, v5, s0
	v_cmp_ne_u32_e64 s2, v13, v24
	v_cmp_ne_u32_e64 s0, 0, v7
	v_and_or_b32 v18, 0x1ff, v19, v18
	v_fmac_f16_e32 v14, v117, v10
	v_lshrrev_b32_e32 v24, 8, v19
	s_wait_alu 0xf1ff
	v_cndmask_b32_e64 v13, 0, 1, s2
	v_cndmask_b32_e64 v7, 0, 1, s0
	v_mul_f64_e32 v[0:1], s[8:9], v[0:1]
	v_cmp_gt_i32_e64 s0, 1, v21
	v_cvt_f32_f16_e32 v14, v14
	v_or_b32_e32 v13, v23, v13
	v_lshl_or_b32 v23, v21, 12, v20
	v_bfe_u32 v25, v19, 20, 11
	v_lshl_or_b32 v7, v7, 9, 0x7c00
	v_cmp_eq_u32_e64 s2, 0x40f, v9
	v_lshrrev_b32_e32 v19, 16, v19
	s_wait_alu 0xf1ff
	v_cndmask_b32_e64 v23, v23, v13, s0
	v_cmp_ne_u32_e64 s0, 0, v18
	v_cvt_f64_f32_e32 v[13:14], v14
	s_delay_alu instid0(VALU_DEP_3) | instskip(SKIP_1) | instid1(VALU_DEP_3)
	v_and_b32_e32 v26, 7, v23
	s_wait_alu 0xf1ff
	v_cndmask_b32_e64 v18, 0, 1, s0
	v_cmp_gt_i32_e64 s0, 31, v9
	v_mul_f16_e32 v9, v28, v10
	v_cmp_eq_u32_e64 s1, 3, v26
	s_delay_alu instid0(VALU_DEP_4)
	v_and_or_b32 v18, 0xffe, v24, v18
	s_wait_alu 0xf1ff
	v_cndmask_b32_e64 v5, 0x7c00, v5, s0
	v_sub_nc_u32_e32 v24, 0x3f1, v25
	v_cmp_lt_i32_e64 s0, 5, v26
	v_add_nc_u32_e32 v25, 0xfffffc10, v25
	v_or_b32_e32 v26, 0x1000, v18
	v_cndmask_b32_e64 v5, v5, v7, s2
	v_lshrrev_b32_e32 v7, 2, v23
	v_med3_i32 v24, v24, 0, 13
	s_or_b32 s0, s1, s0
	v_lshrrev_b32_e32 v23, 16, v8
	s_wait_alu 0xfffe
	v_add_co_ci_u32_e64 v7, s0, 0, v7, s0
	v_lshrrev_b32_e32 v27, v24, v26
	v_cmp_ne_u32_e64 s0, 0, v20
	v_and_or_b32 v5, 0x8000, v23, v5
	v_and_or_b32 v0, 0x1ff, v1, v0
	s_delay_alu instid0(VALU_DEP_4) | instskip(SKIP_4) | instid1(VALU_DEP_3)
	v_lshlrev_b32_e32 v10, v24, v27
	s_wait_alu 0xf1ff
	v_cndmask_b32_e64 v8, 0, 1, s0
	v_cmp_gt_i32_e64 s0, 31, v21
	v_bfe_u32 v28, v1, 20, 11
	v_lshl_or_b32 v24, v8, 9, 0x7c00
	s_wait_alu 0xf1ff
	s_delay_alu instid0(VALU_DEP_3)
	v_cndmask_b32_e64 v20, 0x7c00, v7, s0
	v_cmp_ne_u32_e64 s0, v10, v26
	v_fma_f16 v7, v117, v22, -v9
	v_lshrrev_b32_e32 v26, 8, v1
	v_mul_f64_e32 v[9:10], s[8:9], v[13:14]
	v_sub_nc_u32_e32 v14, 0x3f1, v28
	s_wait_alu 0xf1ff
	v_cndmask_b32_e64 v22, 0, 1, s0
	v_cmp_ne_u32_e64 s0, 0, v0
	v_cvt_f32_f16_e32 v7, v7
	s_delay_alu instid0(VALU_DEP_3) | instskip(SKIP_1) | instid1(VALU_DEP_3)
	v_or_b32_e32 v13, v27, v22
	s_wait_alu 0xf1ff
	v_cndmask_b32_e64 v0, 0, 1, s0
	s_delay_alu instid0(VALU_DEP_3) | instskip(SKIP_2) | instid1(VALU_DEP_4)
	v_cvt_f64_f32_e32 v[7:8], v7
	v_cmp_eq_u32_e64 s0, 0x40f, v21
	v_lshl_or_b32 v22, v25, 12, v18
	v_and_or_b32 v0, 0xffe, v26, v0
	s_wait_alu 0xf1ff
	s_delay_alu instid0(VALU_DEP_3) | instskip(SKIP_3) | instid1(VALU_DEP_4)
	v_cndmask_b32_e64 v20, v20, v24, s0
	v_cmp_gt_i32_e64 s0, 1, v25
	v_med3_i32 v24, v14, 0, 13
	v_or_b32_e32 v21, 0x1000, v0
	v_and_or_b32 v15, 0x8000, v6, v20
	s_wait_alu 0xf1ff
	v_cndmask_b32_e64 v22, v22, v13, s0
	ds_load_2addr_b32 v[13:14], v85 offset0:94 offset1:193
	v_lshrrev_b32_e32 v26, v24, v21
	v_and_b32_e32 v20, 0xffff, v5
	v_and_b32_e32 v23, 7, v22
	v_lshrrev_b32_e32 v5, 2, v22
	s_delay_alu instid0(VALU_DEP_4) | instskip(NEXT) | instid1(VALU_DEP_4)
	v_lshlrev_b32_e32 v6, v24, v26
	v_lshl_or_b32 v15, v15, 16, v20
	s_delay_alu instid0(VALU_DEP_4) | instskip(SKIP_1) | instid1(VALU_DEP_4)
	v_cmp_lt_i32_e64 s0, 5, v23
	v_cmp_eq_u32_e64 s1, 3, v23
	v_cmp_ne_u32_e64 s2, v6, v21
	v_add_nc_u32_e32 v21, 0xfffffc10, v28
	v_lshrrev_b32_e32 v28, 16, v115
	s_delay_alu instid0(VALU_DEP_4) | instskip(NEXT) | instid1(VALU_DEP_3)
	s_or_b32 s0, s1, s0
	v_cndmask_b32_e64 v6, 0, 1, s2
	s_wait_alu 0xfffe
	v_add_co_ci_u32_e64 v22, s0, 0, v5, s0
	v_cmp_ne_u32_e64 s0, 0, v18
	s_wait_dscnt 0x0
	v_lshrrev_b32_e32 v23, 16, v13
	v_or_b32_e32 v5, v26, v6
	v_lshl_or_b32 v6, v21, 12, v0
	v_cmp_eq_u32_e64 s2, 0x40f, v25
	s_wait_alu 0xf1ff
	v_cndmask_b32_e64 v18, 0, 1, s0
	v_cmp_gt_i32_e64 s0, 1, v21
	v_mul_f16_e32 v26, v28, v23
	v_bfe_u32 v27, v10, 20, 11
	s_delay_alu instid0(VALU_DEP_4)
	v_lshl_or_b32 v18, v18, 9, 0x7c00
	s_wait_alu 0xf1ff
	v_cndmask_b32_e64 v24, v6, v5, s0
	v_mul_f64_e32 v[5:6], s[8:9], v[7:8]
	v_and_or_b32 v7, 0x1ff, v10, v9
	v_cmp_gt_i32_e64 s0, 31, v25
	v_fmac_f16_e32 v26, v115, v13
	v_and_b32_e32 v8, 7, v24
	s_wait_alu 0xf1ff
	s_delay_alu instid0(VALU_DEP_3)
	v_cndmask_b32_e64 v9, 0x7c00, v22, s0
	v_cmp_ne_u32_e64 s0, 0, v7
	v_cvt_f32_f16_e32 v7, v26
	v_cmp_eq_u32_e64 s1, 3, v8
	v_lshrrev_b32_e32 v26, 8, v10
	v_cndmask_b32_e64 v9, v9, v18, s2
	s_wait_alu 0xf1ff
	v_cndmask_b32_e64 v22, 0, 1, s0
	v_cmp_lt_i32_e64 s0, 5, v8
	v_cvt_f64_f32_e32 v[7:8], v7
	v_lshrrev_b32_e32 v18, 2, v24
	v_and_or_b32 v9, 0x8000, v19, v9
	v_and_or_b32 v22, 0xffe, v26, v22
	s_or_b32 s0, s1, s0
	v_sub_nc_u32_e32 v26, 0x3f1, v27
	s_wait_alu 0xfffe
	v_add_co_ci_u32_e64 v18, s0, 0, v18, s0
	v_cmp_ne_u32_e64 s0, 0, v0
	v_or_b32_e32 v24, 0x1000, v22
	v_med3_i32 v25, v26, 0, 13
	v_and_b32_e32 v9, 0xffff, v9
	v_lshrrev_b32_e32 v10, 16, v10
	s_wait_alu 0xf1ff
	v_cndmask_b32_e64 v0, 0, 1, s0
	v_cmp_gt_i32_e64 s0, 31, v21
	v_lshrrev_b32_e32 v26, v25, v24
	s_delay_alu instid0(VALU_DEP_3) | instskip(SKIP_1) | instid1(VALU_DEP_3)
	v_lshl_or_b32 v0, v0, 9, 0x7c00
	s_wait_alu 0xf1ff
	v_cndmask_b32_e64 v18, 0x7c00, v18, s0
	v_cmp_eq_u32_e64 s0, 0x40f, v21
	v_lshlrev_b32_e32 v19, v25, v26
	v_and_or_b32 v5, 0x1ff, v6, v5
	v_bfe_u32 v20, v6, 20, 11
	s_wait_alu 0xf1ff
	v_cndmask_b32_e64 v18, v18, v0, s0
	v_mul_f16_e32 v0, v28, v13
	v_cmp_ne_u32_e64 s0, v19, v24
	v_lshrrev_b32_e32 v13, 16, v1
	v_lshrrev_b32_e32 v19, 8, v6
	v_add_nc_u32_e32 v24, 0xfffffc10, v27
	v_fma_f16 v0, v115, v23, -v0
	s_wait_alu 0xf1ff
	v_cndmask_b32_e64 v1, 0, 1, s0
	v_cmp_ne_u32_e64 s0, 0, v5
	v_and_or_b32 v13, 0x8000, v13, v18
	v_lshrrev_b32_e32 v27, 16, v14
	v_cvt_f32_f16_e32 v23, v0
	v_or_b32_e32 v21, v26, v1
	s_wait_alu 0xf1ff
	v_cndmask_b32_e64 v5, 0, 1, s0
	v_mul_f64_e32 v[0:1], s[8:9], v[7:8]
	v_cmp_gt_i32_e64 s0, 1, v24
	v_cvt_f64_f32_e32 v[7:8], v23
	v_lshl_or_b32 v23, v24, 12, v22
	v_and_or_b32 v5, 0xffe, v19, v5
	v_sub_nc_u32_e32 v19, 0x3f1, v20
	v_lshl_or_b32 v26, v13, 16, v9
	s_wait_alu 0xf1ff
	v_cndmask_b32_e64 v21, v23, v21, s0
	v_or_b32_e32 v25, 0x1000, v5
	v_med3_i32 v19, v19, 0, 13
	v_add_co_u32 v11, s0, v11, s6
	s_wait_alu 0xf1ff
	v_add_co_ci_u32_e64 v12, s0, s7, v12, s0
	s_delay_alu instid0(VALU_DEP_3) | instskip(SKIP_2) | instid1(VALU_DEP_3)
	v_lshrrev_b32_e32 v23, v19, v25
	v_and_b32_e32 v9, 7, v21
	v_add_co_u32 v18, s0, v11, s6
	v_lshlrev_b32_e32 v13, v19, v23
	s_wait_alu 0xf1ff
	v_add_co_ci_u32_e64 v19, s0, s7, v12, s0
	v_cmp_lt_i32_e64 s0, 5, v9
	v_cmp_eq_u32_e64 s1, 3, v9
	v_lshrrev_b32_e32 v9, 2, v21
	v_cmp_ne_u32_e64 s2, v13, v25
	v_add_nc_u32_e32 v25, 0xfffffc10, v20
	s_delay_alu instid0(VALU_DEP_4)
	s_or_b32 s0, s1, s0
	s_wait_alu 0xfffe
	v_add_co_ci_u32_e64 v9, s0, 0, v9, s0
	v_cndmask_b32_e64 v13, 0, 1, s2
	v_cmp_ne_u32_e64 s0, 0, v22
	v_mul_f16_e32 v22, v30, v27
	v_lshl_or_b32 v20, v25, 12, v5
	s_delay_alu instid0(VALU_DEP_4)
	v_or_b32_e32 v13, v23, v13
	s_wait_alu 0xf1ff
	v_cndmask_b32_e64 v21, 0, 1, s0
	v_cmp_gt_i32_e64 s0, 1, v25
	v_fmac_f16_e32 v22, v114, v14
	v_and_or_b32 v0, 0x1ff, v1, v0
	v_mul_f64_e32 v[7:8], s[8:9], v[7:8]
	v_lshl_or_b32 v23, v21, 9, 0x7c00
	s_wait_alu 0xf1ff
	v_cndmask_b32_e64 v13, v20, v13, s0
	v_cmp_gt_i32_e64 s0, 31, v24
	v_cvt_f32_f16_e32 v20, v22
	v_lshrrev_b32_e32 v22, 8, v1
	v_bfe_u32 v29, v1, 20, 11
	v_and_b32_e32 v28, 7, v13
	s_wait_alu 0xf1ff
	v_cndmask_b32_e64 v9, 0x7c00, v9, s0
	v_cmp_ne_u32_e64 s0, 0, v0
	v_cvt_f64_f32_e32 v[20:21], v20
	v_mul_f16_e32 v14, v30, v14
	v_cmp_eq_u32_e64 s1, 3, v28
	v_lshrrev_b32_e32 v13, 2, v13
	s_wait_alu 0xf1ff
	v_cndmask_b32_e64 v0, 0, 1, s0
	v_cmp_eq_u32_e64 s0, 0x40f, v24
	v_fma_f16 v14, v114, v27, -v14
	s_delay_alu instid0(VALU_DEP_3) | instskip(SKIP_1) | instid1(VALU_DEP_3)
	v_and_or_b32 v0, 0xffe, v22, v0
	s_wait_alu 0xf1ff
	v_cndmask_b32_e64 v9, v9, v23, s0
	v_cmp_lt_i32_e64 s0, 5, v28
	v_sub_nc_u32_e32 v22, 0x3f1, v29
	v_cvt_f32_f16_e32 v14, v14
	v_or_b32_e32 v23, 0x1000, v0
	v_and_or_b32 v27, 0x8000, v10, v9
	s_or_b32 s0, s1, s0
	v_med3_i32 v22, v22, 0, 13
	s_wait_alu 0xfffe
	v_add_co_ci_u32_e64 v13, s0, 0, v13, s0
	v_cmp_ne_u32_e64 s0, 0, v5
	v_cvt_f64_f32_e32 v[9:10], v14
	v_lshrrev_b32_e32 v24, v22, v23
	v_lshrrev_b32_e32 v28, 16, v6
	v_and_b32_e32 v27, 0xffff, v27
	s_wait_alu 0xf1ff
	v_cndmask_b32_e64 v5, 0, 1, s0
	v_cmp_gt_i32_e64 s0, 31, v25
	v_lshlrev_b32_e32 v22, v22, v24
	v_and_or_b32 v6, 0x1ff, v8, v7
	v_lshrrev_b32_e32 v30, 8, v8
	v_lshl_or_b32 v5, v5, 9, 0x7c00
	s_wait_alu 0xf1ff
	v_cndmask_b32_e64 v13, 0x7c00, v13, s0
	v_cmp_eq_u32_e64 s0, 0x40f, v25
	v_bfe_u32 v31, v8, 20, 11
	v_lshrrev_b32_e32 v8, 16, v8
	s_wait_alu 0xf1ff
	s_delay_alu instid0(VALU_DEP_3) | instskip(SKIP_4) | instid1(VALU_DEP_3)
	v_cndmask_b32_e64 v25, v13, v5, s0
	v_cmp_ne_u32_e64 s0, v22, v23
	v_add_nc_u32_e32 v5, 0x1200, v102
	v_add_nc_u32_e32 v23, 0xfffffc10, v29
	s_wait_alu 0xf1ff
	v_cndmask_b32_e64 v22, 0, 1, s0
	v_cmp_ne_u32_e64 s0, 0, v6
	v_mul_f64_e32 v[6:7], s[8:9], v[20:21]
	ds_load_2addr_b32 v[13:14], v5 offset0:36 offset1:135
	v_and_or_b32 v20, 0x8000, v28, v25
	v_or_b32_e32 v21, v24, v22
	s_wait_alu 0xf1ff
	v_cndmask_b32_e64 v29, 0, 1, s0
	v_lshl_or_b32 v22, v23, 12, v0
	v_sub_nc_u32_e32 v25, 0x3f1, v31
	v_cmp_gt_i32_e64 s0, 1, v23
	global_store_b32 v[11:12], v15, off
	global_store_b32 v[18:19], v26, off
	v_and_or_b32 v24, 0xffe, v30, v29
	v_lshl_or_b32 v15, v20, 16, v27
	v_med3_i32 v25, v25, 0, 13
	s_wait_alu 0xf1ff
	v_cndmask_b32_e64 v21, v22, v21, s0
	v_add_co_u32 v11, s0, v18, s6
	v_or_b32_e32 v22, 0x1000, v24
	s_wait_alu 0xf1ff
	v_add_co_ci_u32_e64 v12, s0, s7, v19, s0
	v_and_b32_e32 v20, 7, v21
	v_mul_f64_e32 v[9:10], s[8:9], v[9:10]
	v_lshrrev_b32_e32 v26, v25, v22
	s_wait_dscnt 0x0
	v_lshrrev_b32_e32 v27, 16, v13
	v_lshrrev_b32_e32 v29, 16, v112
	v_cmp_lt_i32_e64 s0, 5, v20
	v_cmp_eq_u32_e64 s1, 3, v20
	v_lshlrev_b32_e32 v18, v25, v26
	v_lshrrev_b32_e32 v20, 2, v21
	v_mul_f16_e32 v19, v29, v27
	v_add_nc_u32_e32 v21, 0xfffffc10, v31
	s_or_b32 s0, s1, s0
	v_cmp_ne_u32_e64 s2, v18, v22
	s_wait_alu 0xfffe
	v_add_co_ci_u32_e64 v20, s0, 0, v20, s0
	v_cmp_ne_u32_e64 s0, 0, v0
	v_fmac_f16_e32 v19, v112, v13
	s_wait_alu 0xf1ff
	v_cndmask_b32_e64 v18, 0, 1, s2
	v_lshl_or_b32 v25, v21, 12, v24
	v_mul_f16_e32 v13, v29, v13
	v_and_or_b32 v6, 0x1ff, v7, v6
	v_cndmask_b32_e64 v0, 0, 1, s0
	v_or_b32_e32 v22, v26, v18
	v_cmp_gt_i32_e64 s0, 1, v21
	v_cvt_f32_f16_e32 v18, v19
	v_bfe_u32 v26, v7, 20, 11
	v_lshl_or_b32 v0, v0, 9, 0x7c00
	v_fma_f16 v13, v112, v27, -v13
	s_wait_alu 0xf1ff
	v_cndmask_b32_e64 v22, v25, v22, s0
	v_cmp_ne_u32_e64 s0, 0, v6
	v_cvt_f64_f32_e32 v[18:19], v18
	v_lshrrev_b32_e32 v25, 8, v7
	v_cvt_f32_f16_e32 v13, v13
	v_and_b32_e32 v28, 7, v22
	s_wait_alu 0xf1ff
	v_cndmask_b32_e64 v6, 0, 1, s0
	v_cmp_gt_i32_e64 s0, 31, v23
	global_store_b32 v[11:12], v15, off
	v_lshrrev_b32_e32 v7, 16, v7
	v_cmp_eq_u32_e64 s1, 3, v28
	v_and_or_b32 v6, 0xffe, v25, v6
	s_wait_alu 0xf1ff
	v_cndmask_b32_e64 v20, 0x7c00, v20, s0
	v_sub_nc_u32_e32 v25, 0x3f1, v26
	v_cmp_eq_u32_e64 s0, 0x40f, v23
	v_and_or_b32 v9, 0x1ff, v10, v9
	v_bfe_u32 v27, v10, 20, 11
	v_add_nc_u32_e32 v26, 0xfffffc10, v26
	v_med3_i32 v23, v25, 0, 13
	s_wait_alu 0xf1ff
	v_cndmask_b32_e64 v20, v20, v0, s0
	v_or_b32_e32 v0, 0x1000, v6
	v_cmp_lt_i32_e64 s0, 5, v28
	v_lshrrev_b32_e32 v25, 16, v1
	v_lshrrev_b32_e32 v1, 2, v22
	s_delay_alu instid0(VALU_DEP_4) | instskip(NEXT) | instid1(VALU_DEP_4)
	v_lshrrev_b32_e32 v22, v23, v0
	s_or_b32 s0, s1, s0
	s_delay_alu instid0(VALU_DEP_3)
	v_and_or_b32 v15, 0x8000, v25, v20
	s_wait_alu 0xfffe
	v_add_co_ci_u32_e64 v28, s0, 0, v1, s0
	v_lshlrev_b32_e32 v1, v23, v22
	v_cmp_ne_u32_e64 s0, 0, v9
	v_lshrrev_b32_e32 v23, 8, v10
	v_and_b32_e32 v15, 0xffff, v15
	v_lshrrev_b32_e32 v10, 16, v10
	s_wait_alu 0xf1ff
	v_cndmask_b32_e64 v9, 0, 1, s0
	v_cmp_ne_u32_e64 s0, v1, v0
	v_mul_f64_e32 v[0:1], s[8:9], v[18:19]
	s_delay_alu instid0(VALU_DEP_3) | instskip(SKIP_1) | instid1(VALU_DEP_3)
	v_and_or_b32 v23, 0xffe, v23, v9
	s_wait_alu 0xf1ff
	v_cndmask_b32_e64 v29, 0, 1, s0
	v_cmp_ne_u32_e64 s0, 0, v24
	v_sub_nc_u32_e32 v9, 0x3f1, v27
	v_cvt_f64_f32_e32 v[18:19], v13
	v_lshl_or_b32 v24, v26, 12, v6
	v_or_b32_e32 v22, v22, v29
	s_wait_alu 0xf1ff
	v_cndmask_b32_e64 v13, 0, 1, s0
	v_cmp_gt_i32_e64 s0, 31, v21
	v_or_b32_e32 v29, 0x1000, v23
	v_med3_i32 v9, v9, 0, 13
	s_delay_alu instid0(VALU_DEP_4) | instskip(SKIP_4) | instid1(VALU_DEP_1)
	v_lshl_or_b32 v13, v13, 9, 0x7c00
	s_wait_alu 0xf1ff
	v_cndmask_b32_e64 v28, 0x7c00, v28, s0
	v_cmp_gt_i32_e64 s0, 1, v26
	s_wait_alu 0xf1ff
	v_cndmask_b32_e64 v22, v24, v22, s0
	v_lshrrev_b32_e32 v24, v9, v29
	v_cmp_eq_u32_e64 s0, 0x40f, v21
	s_delay_alu instid0(VALU_DEP_3) | instskip(NEXT) | instid1(VALU_DEP_3)
	v_and_b32_e32 v21, 7, v22
	v_lshlrev_b32_e32 v9, v9, v24
	s_wait_alu 0xf1ff
	s_delay_alu instid0(VALU_DEP_3) | instskip(NEXT) | instid1(VALU_DEP_3)
	v_cndmask_b32_e64 v13, v28, v13, s0
	v_cmp_lt_i32_e64 s0, 5, v21
	s_delay_alu instid0(VALU_DEP_3) | instskip(NEXT) | instid1(VALU_DEP_3)
	v_cmp_ne_u32_e64 s1, v9, v29
	v_and_or_b32 v20, 0x8000, v8, v13
	v_lshrrev_b32_e32 v9, 2, v22
	v_add_nc_u32_e32 v13, 0xfffffc10, v27
	v_lshrrev_b32_e32 v29, 16, v110
	s_wait_alu 0xf1ff
	v_cndmask_b32_e64 v8, 0, 1, s1
	v_cmp_eq_u32_e64 s1, 3, v21
	v_and_or_b32 v0, 0x1ff, v1, v0
	v_lshl_or_b32 v21, v13, 12, v23
	v_lshrrev_b32_e32 v25, 8, v1
	v_or_b32_e32 v8, v24, v8
	s_or_b32 s0, s1, s0
	v_lshrrev_b32_e32 v24, 16, v14
	s_wait_alu 0xfffe
	v_add_co_ci_u32_e64 v22, s0, 0, v9, s0
	v_cmp_ne_u32_e64 s0, 0, v6
	v_bfe_u32 v27, v1, 20, 11
	v_lshl_or_b32 v15, v20, 16, v15
	v_lshrrev_b32_e32 v1, 16, v1
	s_wait_alu 0xf1ff
	v_cndmask_b32_e64 v6, 0, 1, s0
	v_cmp_gt_i32_e64 s0, 1, v13
	s_delay_alu instid0(VALU_DEP_2) | instskip(SKIP_1) | instid1(VALU_DEP_2)
	v_lshl_or_b32 v6, v6, 9, 0x7c00
	s_wait_alu 0xf1ff
	v_cndmask_b32_e64 v21, v21, v8, s0
	v_cmp_gt_i32_e64 s0, 31, v26
	v_mul_f64_e32 v[8:9], s[8:9], v[18:19]
	v_mul_f16_e32 v19, v29, v24
	s_wait_alu 0xf1ff
	s_delay_alu instid0(VALU_DEP_3) | instskip(SKIP_1) | instid1(VALU_DEP_3)
	v_cndmask_b32_e64 v18, 0x7c00, v22, s0
	v_cmp_ne_u32_e64 s0, 0, v0
	v_fmac_f16_e32 v19, v110, v14
	v_and_b32_e32 v22, 7, v21
	v_lshrrev_b32_e32 v21, 2, v21
	s_wait_alu 0xf1ff
	v_cndmask_b32_e64 v0, 0, 1, s0
	v_cmp_eq_u32_e64 s0, 0x40f, v26
	v_cmp_eq_u32_e64 s1, 3, v22
	s_delay_alu instid0(VALU_DEP_3) | instskip(SKIP_1) | instid1(VALU_DEP_3)
	v_and_or_b32 v0, 0xffe, v25, v0
	s_wait_alu 0xf1ff
	v_cndmask_b32_e64 v6, v18, v6, s0
	v_cvt_f32_f16_e32 v18, v19
	v_cmp_lt_i32_e64 s0, 5, v22
	v_sub_nc_u32_e32 v25, 0x3f1, v27
	v_or_b32_e32 v22, 0x1000, v0
	v_and_or_b32 v28, 0x8000, v7, v6
	v_cvt_f64_f32_e32 v[18:19], v18
	s_or_b32 s0, s1, s0
	v_med3_i32 v25, v25, 0, 13
	s_wait_alu 0xfffe
	v_add_co_ci_u32_e64 v21, s0, 0, v21, s0
	v_cmp_ne_u32_e64 s0, 0, v23
	v_mul_f16_e32 v6, v29, v14
	v_lshrrev_b32_e32 v26, v25, v22
	s_wait_alu 0xf1ff
	s_delay_alu instid0(VALU_DEP_3) | instskip(SKIP_1) | instid1(VALU_DEP_3)
	v_cndmask_b32_e64 v23, 0, 1, s0
	v_cmp_gt_i32_e64 s0, 31, v13
	v_lshlrev_b32_e32 v7, v25, v26
	v_fma_f16 v6, v110, v24, -v6
	v_add_nc_u32_e32 v24, 0xfffffc10, v27
	v_lshl_or_b32 v23, v23, 9, 0x7c00
	s_wait_alu 0xf1ff
	v_cndmask_b32_e64 v21, 0x7c00, v21, s0
	v_cmp_eq_u32_e64 s0, 0x40f, v13
	v_and_or_b32 v8, 0x1ff, v9, v8
	v_cvt_f32_f16_e32 v6, v6
	v_lshrrev_b32_e32 v14, 8, v9
	v_lshl_or_b32 v25, v24, 12, v0
	s_wait_alu 0xf1ff
	v_cndmask_b32_e64 v21, v21, v23, s0
	v_cmp_ne_u32_e64 s0, v7, v22
	v_cvt_f64_f32_e32 v[6:7], v6
	v_bfe_u32 v22, v9, 20, 11
	s_delay_alu instid0(VALU_DEP_4) | instskip(SKIP_4) | instid1(VALU_DEP_3)
	v_and_or_b32 v20, 0x8000, v10, v21
	s_wait_alu 0xf1ff
	v_cndmask_b32_e64 v13, 0, 1, s0
	v_cmp_ne_u32_e64 s0, 0, v8
	v_and_b32_e32 v21, 0xffff, v28
	v_or_b32_e32 v23, v26, v13
	s_wait_alu 0xf1ff
	s_delay_alu instid0(VALU_DEP_3) | instskip(SKIP_3) | instid1(VALU_DEP_4)
	v_cndmask_b32_e64 v8, 0, 1, s0
	v_sub_nc_u32_e32 v26, 0x3f1, v22
	v_cmp_gt_i32_e64 s0, 1, v24
	v_mul_f64_e32 v[18:19], s[8:9], v[18:19]
	v_and_or_b32 v8, 0xffe, v14, v8
	ds_load_2addr_b32 v[13:14], v84 offset0:106 offset1:205
	s_wait_alu 0xf1ff
	v_cndmask_b32_e64 v23, v25, v23, s0
	v_med3_i32 v26, v26, 0, 13
	v_add_co_u32 v10, s0, v11, s6
	v_or_b32_e32 v25, 0x1000, v8
	s_delay_alu instid0(VALU_DEP_4)
	v_and_b32_e32 v27, 7, v23
	s_wait_alu 0xf1ff
	v_add_co_ci_u32_e64 v11, s0, s7, v12, s0
	v_lshl_or_b32 v12, v20, 16, v21
	v_lshrrev_b32_e32 v28, v26, v25
	v_cmp_lt_i32_e64 s0, 5, v27
	v_cmp_eq_u32_e64 s1, 3, v27
	v_lshrrev_b32_e32 v21, 2, v23
	s_delay_alu instid0(VALU_DEP_4) | instskip(NEXT) | instid1(VALU_DEP_3)
	v_lshlrev_b32_e32 v20, v26, v28
	s_or_b32 s0, s1, s0
	s_wait_alu 0xfffe
	s_delay_alu instid0(VALU_DEP_2)
	v_add_co_ci_u32_e64 v21, s0, 0, v21, s0
	s_wait_dscnt 0x0
	v_lshrrev_b32_e32 v26, 16, v13
	v_cmp_ne_u32_e64 s2, v20, v25
	v_add_nc_u32_e32 v25, 0xfffffc10, v22
	v_cmp_ne_u32_e64 s0, 0, v0
	v_mul_f64_e32 v[6:7], s[8:9], v[6:7]
	v_mul_f16_e32 v22, v32, v26
	s_wait_alu 0xf1ff
	v_cndmask_b32_e64 v20, 0, 1, s2
	v_lshl_or_b32 v23, v25, 12, v8
	v_cndmask_b32_e64 v0, 0, 1, s0
	v_cmp_gt_i32_e64 s0, 1, v25
	v_fmac_f16_e32 v22, v108, v13
	v_or_b32_e32 v20, v28, v20
	s_delay_alu instid0(VALU_DEP_4) | instskip(SKIP_2) | instid1(VALU_DEP_3)
	v_lshl_or_b32 v0, v0, 9, 0x7c00
	v_and_or_b32 v18, 0x1ff, v19, v18
	s_wait_alu 0xf1ff
	v_cndmask_b32_e64 v27, v23, v20, s0
	v_cvt_f32_f16_e32 v20, v22
	v_cmp_gt_i32_e64 s0, 31, v24
	v_cmp_ne_u32_e64 s1, 0, v18
	s_delay_alu instid0(VALU_DEP_4)
	v_and_b32_e32 v29, 7, v27
	v_lshrrev_b32_e32 v27, 2, v27
	s_wait_alu 0xf1ff
	v_cndmask_b32_e64 v28, 0x7c00, v21, s0
	v_cvt_f64_f32_e32 v[20:21], v20
	v_add_co_u32 v22, s0, v10, s6
	s_wait_alu 0xf1ff
	v_add_co_ci_u32_e64 v23, s0, s7, v11, s0
	v_cmp_eq_u32_e64 s0, 0x40f, v24
	v_cndmask_b32_e64 v18, 0, 1, s1
	v_cmp_eq_u32_e64 s1, 3, v29
	v_lshrrev_b32_e32 v24, 8, v19
	global_store_b32 v[10:11], v15, off
	global_store_b32 v[22:23], v12, off
	s_wait_alu 0xf1ff
	v_cndmask_b32_e64 v0, v28, v0, s0
	v_cmp_lt_i32_e64 s0, 5, v29
	v_bfe_u32 v28, v19, 20, 11
	v_and_or_b32 v18, 0xffe, v24, v18
	v_lshrrev_b32_e32 v15, 16, v14
	v_and_or_b32 v30, 0x8000, v1, v0
	s_or_b32 s0, s1, s0
	v_sub_nc_u32_e32 v24, 0x3f1, v28
	s_wait_alu 0xfffe
	v_add_co_ci_u32_e64 v27, s0, 0, v27, s0
	v_cmp_ne_u32_e64 s0, 0, v8
	v_or_b32_e32 v29, 0x1000, v18
	v_med3_i32 v24, v24, 0, 13
	v_and_or_b32 v0, 0x1ff, v7, v6
	v_lshrrev_b32_e32 v19, 16, v19
	s_wait_alu 0xf1ff
	v_cndmask_b32_e64 v8, 0, 1, s0
	v_cmp_gt_i32_e64 s0, 31, v25
	v_lshrrev_b32_e32 v31, v24, v29
	s_delay_alu instid0(VALU_DEP_3) | instskip(SKIP_1) | instid1(VALU_DEP_3)
	v_lshl_or_b32 v8, v8, 9, 0x7c00
	s_wait_alu 0xf1ff
	v_cndmask_b32_e64 v27, 0x7c00, v27, s0
	v_cmp_eq_u32_e64 s0, 0x40f, v25
	v_lshrrev_b32_e32 v25, 16, v9
	v_mul_f16_e32 v9, v32, v13
	s_wait_alu 0xf1ff
	s_delay_alu instid0(VALU_DEP_3)
	v_cndmask_b32_e64 v6, v27, v8, s0
	v_lshlrev_b32_e32 v8, v24, v31
	v_cmp_ne_u32_e64 s0, 0, v0
	v_lshrrev_b32_e32 v24, 8, v7
	v_bfe_u32 v27, v7, 20, 11
	v_mul_f64_e32 v[0:1], s[8:9], v[20:21]
	v_fma_f16 v9, v108, v26, -v9
	s_wait_alu 0xf1ff
	v_cndmask_b32_e64 v13, 0, 1, s0
	v_cmp_ne_u32_e64 s0, v8, v29
	v_add_nc_u32_e32 v20, 0xfffffc10, v28
	v_and_or_b32 v6, 0x8000, v25, v6
	v_cvt_f32_f16_e32 v9, v9
	v_and_or_b32 v21, 0xffe, v24, v13
	s_wait_alu 0xf1ff
	v_cndmask_b32_e64 v8, 0, 1, s0
	v_sub_nc_u32_e32 v13, 0x3f1, v27
	v_lshl_or_b32 v26, v20, 12, v18
	v_cmp_gt_i32_e64 s0, 1, v20
	v_or_b32_e32 v28, 0x1000, v21
	v_or_b32_e32 v24, v31, v8
	v_med3_i32 v13, v13, 0, 13
	v_cvt_f64_f32_e32 v[8:9], v9
	v_and_b32_e32 v25, 0xffff, v30
	v_lshrrev_b32_e32 v29, 16, v105
	s_wait_alu 0xf1ff
	v_cndmask_b32_e64 v24, v26, v24, s0
	v_lshrrev_b32_e32 v26, v13, v28
	v_add_co_u32 v10, s0, v22, s6
	v_lshl_or_b32 v25, v6, 16, v25
	s_delay_alu instid0(VALU_DEP_4) | instskip(NEXT) | instid1(VALU_DEP_4)
	v_and_b32_e32 v6, 7, v24
	v_lshlrev_b32_e32 v12, v13, v26
	s_wait_alu 0xf1ff
	v_add_co_ci_u32_e64 v11, s0, s7, v23, s0
	v_add_nc_u32_e32 v22, 0xfffffc10, v27
	v_cmp_lt_i32_e64 s0, 5, v6
	v_cmp_ne_u32_e64 s1, v12, v28
	v_mul_f16_e32 v13, v29, v15
	v_cmp_eq_u32_e64 s2, 0x40f, v20
	v_lshl_or_b32 v23, v22, 12, v21
	v_lshrrev_b32_e32 v7, 16, v7
	s_wait_alu 0xf1ff
	v_cndmask_b32_e64 v12, 0, 1, s1
	v_cmp_eq_u32_e64 s1, 3, v6
	v_lshrrev_b32_e32 v6, 2, v24
	v_fmac_f16_e32 v13, v105, v14
	v_and_or_b32 v0, 0x1ff, v1, v0
	v_or_b32_e32 v12, v26, v12
	s_or_b32 s0, s1, s0
	v_lshrrev_b32_e32 v24, 8, v1
	s_wait_alu 0xfffe
	v_add_co_ci_u32_e64 v6, s0, 0, v6, s0
	v_cmp_gt_i32_e64 s0, 1, v22
	v_cvt_f32_f16_e32 v13, v13
	v_bfe_u32 v26, v1, 20, 11
	v_mul_f16_e32 v14, v29, v14
	v_lshrrev_b32_e32 v1, 16, v1
	s_wait_alu 0xf1ff
	v_cndmask_b32_e64 v23, v23, v12, s0
	v_cmp_ne_u32_e64 s0, 0, v0
	v_cvt_f64_f32_e32 v[12:13], v13
	v_fma_f16 v14, v105, v15, -v14
	v_mul_f64_e32 v[8:9], s[8:9], v[8:9]
	v_and_b32_e32 v27, 7, v23
	s_wait_alu 0xf1ff
	v_cndmask_b32_e64 v0, 0, 1, s0
	v_cmp_ne_u32_e64 s0, 0, v18
	v_lshrrev_b32_e32 v23, 2, v23
	v_cmp_eq_u32_e64 s1, 3, v27
	s_delay_alu instid0(VALU_DEP_4)
	v_and_or_b32 v0, 0xffe, v24, v0
	s_wait_alu 0xf1ff
	v_cndmask_b32_e64 v18, 0, 1, s0
	v_cmp_gt_i32_e64 s0, 31, v20
	v_sub_nc_u32_e32 v24, 0x3f1, v26
	v_or_b32_e32 v28, 0x1000, v0
	s_delay_alu instid0(VALU_DEP_4) | instskip(SKIP_4) | instid1(VALU_DEP_3)
	v_lshl_or_b32 v18, v18, 9, 0x7c00
	s_wait_alu 0xf1ff
	v_cndmask_b32_e64 v6, 0x7c00, v6, s0
	v_cmp_lt_i32_e64 s0, 5, v27
	v_med3_i32 v24, v24, 0, 13
	v_cndmask_b32_e64 v6, v6, v18, s2
	s_delay_alu instid0(VALU_DEP_3) | instskip(NEXT) | instid1(VALU_DEP_2)
	s_or_b32 s0, s1, s0
	v_lshrrev_b32_e32 v18, v24, v28
	s_wait_alu 0xfffe
	v_add_co_ci_u32_e64 v20, s0, 0, v23, s0
	v_cmp_ne_u32_e64 s0, 0, v21
	v_and_or_b32 v19, 0x8000, v19, v6
	v_lshlrev_b32_e32 v23, v24, v18
	s_wait_alu 0xf1ff
	s_delay_alu instid0(VALU_DEP_3) | instskip(SKIP_2) | instid1(VALU_DEP_3)
	v_cndmask_b32_e64 v21, 0, 1, s0
	v_cmp_gt_i32_e64 s0, 31, v22
	v_and_b32_e32 v19, 0xffff, v19
	v_lshl_or_b32 v21, v21, 9, 0x7c00
	s_wait_alu 0xf1ff
	s_delay_alu instid0(VALU_DEP_3)
	v_cndmask_b32_e64 v20, 0x7c00, v20, s0
	v_cmp_ne_u32_e64 s0, v23, v28
	v_mul_f64_e32 v[12:13], s[8:9], v[12:13]
	v_and_or_b32 v8, 0x1ff, v9, v8
	v_lshrrev_b32_e32 v28, 16, v104
	s_wait_alu 0xf1ff
	v_cndmask_b32_e64 v6, 0, 1, s0
	v_cmp_eq_u32_e64 s0, 0x40f, v22
	ds_load_b32 v22, v102 offset:6336
	v_or_b32_e32 v6, v18, v6
	s_wait_alu 0xf1ff
	v_cndmask_b32_e64 v20, v20, v21, s0
	v_add_nc_u32_e32 v21, 0xfffffc10, v26
	s_delay_alu instid0(VALU_DEP_2) | instskip(NEXT) | instid1(VALU_DEP_2)
	v_and_or_b32 v20, 0x8000, v7, v20
	v_lshl_or_b32 v18, v21, 12, v0
	v_cmp_gt_i32_e64 s0, 1, v21
	s_wait_alu 0xf1ff
	s_delay_alu instid0(VALU_DEP_1)
	v_cndmask_b32_e64 v15, v18, v6, s0
	v_cmp_ne_u32_e64 s0, 0, v8
	v_cvt_f32_f16_e32 v6, v14
	v_lshrrev_b32_e32 v14, 8, v9
	v_bfe_u32 v18, v9, 20, 11
	v_and_b32_e32 v23, 7, v15
	s_wait_alu 0xf1ff
	v_cndmask_b32_e64 v8, 0, 1, s0
	v_cvt_f64_f32_e32 v[6:7], v6
	s_wait_dscnt 0x0
	v_lshrrev_b32_e32 v24, 16, v22
	v_lshrrev_b32_e32 v15, 2, v15
	v_cmp_lt_i32_e64 s0, 5, v23
	v_and_or_b32 v8, 0xffe, v14, v8
	v_sub_nc_u32_e32 v14, 0x3f1, v18
	v_cmp_eq_u32_e64 s1, 3, v23
	v_mul_f16_e32 v27, v28, v24
	v_lshl_or_b32 v23, v20, 16, v19
	v_or_b32_e32 v26, 0x1000, v8
	v_med3_i32 v14, v14, 0, 13
	s_or_b32 s0, s1, s0
	v_fmac_f16_e32 v27, v104, v22
	s_wait_alu 0xfffe
	v_add_co_ci_u32_e64 v15, s0, 0, v15, s0
	v_lshrrev_b32_e32 v19, v14, v26
	v_cmp_ne_u32_e64 s0, 0, v0
	v_and_or_b32 v12, 0x1ff, v13, v12
	s_delay_alu instid0(VALU_DEP_3) | instskip(SKIP_1) | instid1(VALU_DEP_3)
	v_lshlrev_b32_e32 v20, v14, v19
	s_wait_alu 0xf1ff
	v_cndmask_b32_e64 v0, 0, 1, s0
	v_cvt_f32_f16_e32 v14, v27
	v_cmp_gt_i32_e64 s0, 31, v21
	s_delay_alu instid0(VALU_DEP_3) | instskip(SKIP_1) | instid1(VALU_DEP_2)
	v_lshl_or_b32 v0, v0, 9, 0x7c00
	s_wait_alu 0xf1ff
	v_cndmask_b32_e64 v27, 0x7c00, v15, s0
	v_cvt_f64_f32_e32 v[14:15], v14
	v_cmp_ne_u32_e64 s0, v20, v26
	v_add_nc_u32_e32 v26, 0xfffffc10, v18
	v_mul_f16_e32 v18, v28, v22
	v_lshrrev_b32_e32 v22, 8, v13
	v_bfe_u32 v28, v13, 20, 11
	s_wait_alu 0xf1ff
	v_cndmask_b32_e64 v20, 0, 1, s0
	v_cmp_ne_u32_e64 s0, 0, v12
	v_fma_f16 v18, v104, v24, -v18
	v_mul_f64_e32 v[6:7], s[8:9], v[6:7]
	v_lshrrev_b32_e32 v13, 16, v13
	v_or_b32_e32 v19, v19, v20
	s_wait_alu 0xf1ff
	v_cndmask_b32_e64 v12, 0, 1, s0
	v_lshl_or_b32 v20, v26, 12, v8
	v_cmp_gt_i32_e64 s0, 1, v26
	v_cvt_f32_f16_e32 v18, v18
	s_delay_alu instid0(VALU_DEP_4)
	v_and_or_b32 v12, 0xffe, v22, v12
	v_sub_nc_u32_e32 v22, 0x3f1, v28
	s_wait_alu 0xf1ff
	v_cndmask_b32_e64 v24, v20, v19, s0
	v_cmp_eq_u32_e64 s0, 0x40f, v21
	v_cvt_f64_f32_e32 v[18:19], v18
	v_or_b32_e32 v29, 0x1000, v12
	v_med3_i32 v22, v22, 0, 13
	s_wait_alu 0xf1ff
	v_cndmask_b32_e64 v0, v27, v0, s0
	v_and_b32_e32 v27, 7, v24
	v_add_co_u32 v20, s0, v10, s6
	v_lshrrev_b32_e32 v30, v22, v29
	s_wait_alu 0xf1ff
	v_add_co_ci_u32_e64 v21, s0, s7, v11, s0
	v_cmp_lt_i32_e64 s0, 5, v27
	v_cmp_eq_u32_e64 s1, 3, v27
	v_lshrrev_b32_e32 v24, 2, v24
	v_lshlrev_b32_e32 v22, v22, v30
	v_and_or_b32 v31, 0x8000, v1, v0
	v_add_nc_u32_e32 v27, 0xfffffc10, v28
	s_or_b32 s0, s1, s0
	v_mul_f64_e32 v[0:1], s[8:9], v[14:15]
	s_wait_alu 0xfffe
	v_add_co_ci_u32_e64 v14, s0, 0, v24, s0
	v_cmp_ne_u32_e64 s2, v22, v29
	v_cmp_ne_u32_e64 s0, 0, v8
	s_wait_alu 0xf1ff
	s_delay_alu instid0(VALU_DEP_2) | instskip(NEXT) | instid1(VALU_DEP_2)
	v_cndmask_b32_e64 v22, 0, 1, s2
	v_cndmask_b32_e64 v8, 0, 1, s0
	v_cmp_gt_i32_e64 s0, 31, v26
	v_and_or_b32 v6, 0x1ff, v7, v6
	s_delay_alu instid0(VALU_DEP_4)
	v_or_b32_e32 v15, v30, v22
	v_lshl_or_b32 v22, v27, 12, v12
	s_wait_alu 0xf1ff
	v_cndmask_b32_e64 v14, 0x7c00, v14, s0
	v_cmp_gt_i32_e64 s0, 1, v27
	v_lshl_or_b32 v8, v8, 9, 0x7c00
	s_wait_alu 0xf1ff
	s_delay_alu instid0(VALU_DEP_2) | instskip(SKIP_3) | instid1(VALU_DEP_4)
	v_cndmask_b32_e64 v15, v22, v15, s0
	v_cmp_eq_u32_e64 s0, 0x40f, v26
	v_lshrrev_b32_e32 v22, 16, v9
	v_lshrrev_b32_e32 v26, 8, v7
	v_and_b32_e32 v24, 7, v15
	s_wait_alu 0xf1ff
	v_cndmask_b32_e64 v14, v14, v8, s0
	v_cmp_ne_u32_e64 s0, 0, v6
	v_mul_f64_e32 v[8:9], s[8:9], v[18:19]
	v_bfe_u32 v18, v7, 20, 11
	v_cmp_eq_u32_e64 s1, 3, v24
	v_lshrrev_b32_e32 v15, 2, v15
	s_wait_alu 0xf1ff
	v_cndmask_b32_e64 v6, 0, 1, s0
	v_cmp_lt_i32_e64 s0, 5, v24
	v_and_or_b32 v14, 0x8000, v22, v14
	v_and_b32_e32 v19, 0xffff, v31
	v_sub_nc_u32_e32 v22, 0x3f1, v18
	v_and_or_b32 v6, 0xffe, v26, v6
	s_or_b32 s0, s1, s0
	v_and_or_b32 v0, 0x1ff, v1, v0
	s_wait_alu 0xfffe
	v_add_co_ci_u32_e64 v15, s0, 0, v15, s0
	v_lshl_or_b32 v14, v14, 16, v19
	v_or_b32_e32 v19, 0x1000, v6
	v_med3_i32 v22, v22, 0, 13
	v_cmp_ne_u32_e64 s0, 0, v12
	v_lshrrev_b32_e32 v26, 8, v1
	v_bfe_u32 v28, v1, 20, 11
	v_add_nc_u32_e32 v18, 0xfffffc10, v18
	v_lshrrev_b32_e32 v24, v22, v19
	s_wait_alu 0xf1ff
	v_cndmask_b32_e64 v12, 0, 1, s0
	v_cmp_gt_i32_e64 s0, 31, v27
	v_lshrrev_b32_e32 v7, 16, v7
	v_lshrrev_b32_e32 v1, 16, v1
	v_lshlrev_b32_e32 v22, v22, v24
	v_lshl_or_b32 v12, v12, 9, 0x7c00
	s_wait_alu 0xf1ff
	v_cndmask_b32_e64 v15, 0x7c00, v15, s0
	v_cmp_ne_u32_e64 s0, 0, v0
	s_wait_alu 0xf1ff
	s_delay_alu instid0(VALU_DEP_1) | instskip(SKIP_3) | instid1(VALU_DEP_4)
	v_cndmask_b32_e64 v0, 0, 1, s0
	v_cmp_ne_u32_e64 s0, v22, v19
	v_sub_nc_u32_e32 v22, 0x3f1, v28
	v_and_or_b32 v8, 0x1ff, v9, v8
	v_and_or_b32 v0, 0xffe, v26, v0
	s_wait_alu 0xf1ff
	v_cndmask_b32_e64 v19, 0, 1, s0
	v_cmp_eq_u32_e64 s0, 0x40f, v27
	v_med3_i32 v22, v22, 0, 13
	v_lshrrev_b32_e32 v26, 8, v9
	v_bfe_u32 v27, v9, 20, 11
	s_wait_alu 0xf1ff
	v_cndmask_b32_e64 v12, v15, v12, s0
	v_or_b32_e32 v15, v24, v19
	v_lshl_or_b32 v19, v18, 12, v6
	v_or_b32_e32 v24, 0x1000, v0
	v_cmp_gt_i32_e64 s0, 1, v18
	v_and_or_b32 v12, 0x8000, v13, v12
	v_sub_nc_u32_e32 v13, 0x3f1, v27
	s_wait_alu 0xf1ff
	s_delay_alu instid0(VALU_DEP_3)
	v_cndmask_b32_e64 v15, v19, v15, s0
	v_lshrrev_b32_e32 v19, v22, v24
	v_cmp_ne_u32_e64 s0, 0, v8
	v_med3_i32 v13, v13, 0, 13
	v_and_b32_e32 v12, 0xffff, v12
	v_and_b32_e32 v29, 7, v15
	v_lshlrev_b32_e32 v22, v22, v19
	s_wait_alu 0xf1ff
	v_cndmask_b32_e64 v8, 0, 1, s0
	v_lshrrev_b32_e32 v15, 2, v15
	v_cmp_lt_i32_e64 s0, 5, v29
	v_cmp_ne_u32_e64 s1, v22, v24
	s_delay_alu instid0(VALU_DEP_4) | instskip(SKIP_2) | instid1(VALU_DEP_3)
	v_and_or_b32 v8, 0xffe, v26, v8
	v_add_nc_u32_e32 v26, 0xfffffc10, v28
	s_wait_alu 0xf1ff
	v_cndmask_b32_e64 v22, 0, 1, s1
	v_cmp_eq_u32_e64 s1, 3, v29
	v_or_b32_e32 v24, 0x1000, v8
	v_lshl_or_b32 v28, v26, 12, v0
	s_delay_alu instid0(VALU_DEP_4) | instskip(NEXT) | instid1(VALU_DEP_4)
	v_or_b32_e32 v19, v19, v22
	s_or_b32 s0, s1, s0
	s_delay_alu instid0(VALU_DEP_3) | instskip(SKIP_3) | instid1(VALU_DEP_3)
	v_lshrrev_b32_e32 v22, v13, v24
	s_wait_alu 0xfffe
	v_add_co_ci_u32_e64 v15, s0, 0, v15, s0
	v_cmp_gt_i32_e64 s0, 1, v26
	v_lshlrev_b32_e32 v13, v13, v22
	s_wait_alu 0xf1ff
	s_delay_alu instid0(VALU_DEP_2) | instskip(SKIP_2) | instid1(VALU_DEP_1)
	v_cndmask_b32_e64 v19, v28, v19, s0
	v_cmp_ne_u32_e64 s0, 0, v6
	s_wait_alu 0xf1ff
	v_cndmask_b32_e64 v6, 0, 1, s0
	v_cmp_ne_u32_e64 s0, v13, v24
	v_add_nc_u32_e32 v24, 0xfffffc10, v27
	v_and_b32_e32 v27, 7, v19
	s_delay_alu instid0(VALU_DEP_4)
	v_lshl_or_b32 v6, v6, 9, 0x7c00
	s_wait_alu 0xf1ff
	v_cndmask_b32_e64 v13, 0, 1, s0
	v_cmp_gt_i32_e64 s0, 31, v18
	v_cmp_gt_i32_e64 s2, 1, v24
	v_cmp_eq_u32_e64 s1, 3, v27
	s_delay_alu instid0(VALU_DEP_4) | instskip(SKIP_4) | instid1(VALU_DEP_3)
	v_or_b32_e32 v13, v22, v13
	v_lshl_or_b32 v22, v24, 12, v8
	s_wait_alu 0xf1ff
	v_cndmask_b32_e64 v15, 0x7c00, v15, s0
	v_cmp_lt_i32_e64 s0, 5, v27
	v_cndmask_b32_e64 v13, v22, v13, s2
	v_cmp_eq_u32_e64 s2, 0x40f, v18
	s_delay_alu instid0(VALU_DEP_3) | instskip(NEXT) | instid1(VALU_DEP_2)
	s_or_b32 s0, s1, s0
	v_and_b32_e32 v18, 7, v13
	s_delay_alu instid0(VALU_DEP_2)
	v_cndmask_b32_e64 v6, v15, v6, s2
	v_lshrrev_b32_e32 v15, 2, v19
	v_lshrrev_b32_e32 v13, 2, v13
	v_cmp_gt_i32_e64 s2, 31, v26
	v_cmp_eq_u32_e64 s1, 3, v18
	s_wait_alu 0xfffe
	v_add_co_ci_u32_e64 v15, s0, 0, v15, s0
	v_cmp_ne_u32_e64 s0, 0, v0
	s_wait_alu 0xf1ff
	s_delay_alu instid0(VALU_DEP_2) | instskip(NEXT) | instid1(VALU_DEP_2)
	v_cndmask_b32_e64 v15, 0x7c00, v15, s2
	v_cndmask_b32_e64 v0, 0, 1, s0
	v_cmp_lt_i32_e64 s0, 5, v18
	s_delay_alu instid0(VALU_DEP_2) | instskip(NEXT) | instid1(VALU_DEP_2)
	v_lshl_or_b32 v0, v0, 9, 0x7c00
	s_or_b32 s0, s1, s0
	s_wait_alu 0xfffe
	v_add_co_ci_u32_e64 v13, s0, 0, v13, s0
	v_cmp_ne_u32_e64 s0, 0, v8
	s_wait_alu 0xf1ff
	s_delay_alu instid0(VALU_DEP_1) | instskip(SKIP_1) | instid1(VALU_DEP_2)
	v_cndmask_b32_e64 v8, 0, 1, s0
	v_cmp_eq_u32_e64 s0, 0x40f, v26
	v_lshl_or_b32 v8, v8, 9, 0x7c00
	s_wait_alu 0xf1ff
	s_delay_alu instid0(VALU_DEP_2) | instskip(SKIP_2) | instid1(VALU_DEP_3)
	v_cndmask_b32_e64 v0, v15, v0, s0
	v_cmp_gt_i32_e64 s0, 31, v24
	v_and_or_b32 v15, 0x8000, v7, v6
	v_and_or_b32 v0, 0x8000, v1, v0
	s_wait_alu 0xf1ff
	s_delay_alu instid0(VALU_DEP_3) | instskip(SKIP_4) | instid1(VALU_DEP_3)
	v_cndmask_b32_e64 v13, 0x7c00, v13, s0
	v_cmp_eq_u32_e64 s0, 0x40f, v24
	v_lshl_or_b32 v12, v15, 16, v12
	v_and_b32_e32 v0, 0xffff, v0
	s_wait_alu 0xf1ff
	v_cndmask_b32_e64 v1, v13, v8, s0
	v_lshrrev_b32_e32 v8, 16, v9
	v_add_co_u32 v6, s0, v20, s6
	s_wait_alu 0xf1ff
	v_add_co_ci_u32_e64 v7, s0, s7, v21, s0
	s_delay_alu instid0(VALU_DEP_3) | instskip(NEXT) | instid1(VALU_DEP_3)
	v_and_or_b32 v1, 0x8000, v8, v1
	v_add_co_u32 v8, s0, v6, s6
	s_wait_alu 0xf1ff
	s_delay_alu instid0(VALU_DEP_3) | instskip(NEXT) | instid1(VALU_DEP_3)
	v_add_co_ci_u32_e64 v9, s0, s7, v7, s0
	v_lshl_or_b32 v13, v1, 16, v0
	s_delay_alu instid0(VALU_DEP_3) | instskip(SKIP_1) | instid1(VALU_DEP_3)
	v_add_co_u32 v0, s0, v8, s6
	s_wait_alu 0xf1ff
	v_add_co_ci_u32_e64 v1, s0, s7, v9, s0
	global_store_b32 v[10:11], v25, off
	global_store_b32 v[20:21], v23, off
	;; [unrolled: 1-line block ×5, first 2 shown]
	s_and_b32 exec_lo, exec_lo, vcc_lo
	s_cbranch_execz .LBB0_15
; %bb.14:
	global_load_b32 v8, v[16:17], off offset:204
	ds_load_2addr_b32 v[6:7], v102 offset0:51 offset1:150
	v_mad_co_u64_u32 v[0:1], null, 0xffffe80c, s4, v[0:1]
	scratch_load_b32 v21, off, off offset:116 th:TH_LOAD_LU ; 4-byte Folded Reload
	s_wait_dscnt 0x0
	v_lshrrev_b32_e32 v9, 16, v6
	s_wait_loadcnt 0x1
	v_lshrrev_b32_e32 v10, 16, v8
	s_delay_alu instid0(VALU_DEP_1) | instskip(SKIP_1) | instid1(VALU_DEP_2)
	v_mul_f16_e32 v11, v9, v10
	v_mul_f16_e32 v10, v6, v10
	v_fmac_f16_e32 v11, v6, v8
	s_delay_alu instid0(VALU_DEP_2) | instskip(NEXT) | instid1(VALU_DEP_2)
	v_fma_f16 v6, v8, v9, -v10
	v_cvt_f32_f16_e32 v8, v11
	s_delay_alu instid0(VALU_DEP_2) | instskip(NEXT) | instid1(VALU_DEP_2)
	v_cvt_f32_f16_e32 v6, v6
	v_cvt_f64_f32_e32 v[8:9], v8
	s_delay_alu instid0(VALU_DEP_2) | instskip(NEXT) | instid1(VALU_DEP_2)
	v_cvt_f64_f32_e32 v[10:11], v6
	v_mul_f64_e32 v[8:9], s[8:9], v[8:9]
	s_delay_alu instid0(VALU_DEP_2) | instskip(NEXT) | instid1(VALU_DEP_2)
	v_mul_f64_e32 v[10:11], s[8:9], v[10:11]
	v_and_or_b32 v6, 0x1ff, v9, v8
	s_delay_alu instid0(VALU_DEP_2)
	v_and_or_b32 v10, 0x1ff, v11, v10
	v_lshrrev_b32_e32 v8, 8, v9
	v_bfe_u32 v12, v9, 20, 11
	v_lshrrev_b32_e32 v13, 8, v11
	v_cmp_ne_u32_e32 vcc_lo, 0, v6
	v_bfe_u32 v14, v11, 20, 11
	v_lshrrev_b32_e32 v9, 16, v9
	v_sub_nc_u32_e32 v15, 0x3f1, v12
	v_add_nc_u32_e32 v12, 0xfffffc10, v12
	s_wait_alu 0xfffd
	v_cndmask_b32_e64 v6, 0, 1, vcc_lo
	v_cmp_ne_u32_e32 vcc_lo, 0, v10
	v_lshrrev_b32_e32 v11, 16, v11
	s_delay_alu instid0(VALU_DEP_3) | instskip(SKIP_4) | instid1(VALU_DEP_3)
	v_and_or_b32 v6, 0xffe, v8, v6
	s_wait_alu 0xfffd
	v_cndmask_b32_e64 v10, 0, 1, vcc_lo
	v_sub_nc_u32_e32 v8, 0x3f1, v14
	v_add_nc_u32_e32 v14, 0xfffffc10, v14
	v_and_or_b32 v10, 0xffe, v13, v10
	v_med3_i32 v13, v15, 0, 13
	v_or_b32_e32 v15, 0x1000, v6
	v_med3_i32 v8, v8, 0, 13
	s_delay_alu instid0(VALU_DEP_4) | instskip(NEXT) | instid1(VALU_DEP_3)
	v_or_b32_e32 v18, 0x1000, v10
	v_lshrrev_b32_e32 v19, v13, v15
	s_delay_alu instid0(VALU_DEP_2) | instskip(NEXT) | instid1(VALU_DEP_2)
	v_lshrrev_b32_e32 v20, v8, v18
	v_lshlrev_b32_e32 v13, v13, v19
	s_delay_alu instid0(VALU_DEP_1) | instskip(SKIP_3) | instid1(VALU_DEP_1)
	v_cmp_ne_u32_e32 vcc_lo, v13, v15
	v_lshl_or_b32 v15, v12, 12, v6
	s_wait_alu 0xfffd
	v_cndmask_b32_e64 v13, 0, 1, vcc_lo
	v_or_b32_e32 v13, v19, v13
	v_lshlrev_b32_e32 v8, v8, v20
	s_delay_alu instid0(VALU_DEP_1) | instskip(SKIP_4) | instid1(VALU_DEP_2)
	v_cmp_ne_u32_e32 vcc_lo, v8, v18
	v_lshl_or_b32 v18, v14, 12, v10
	s_wait_alu 0xfffd
	v_cndmask_b32_e64 v8, 0, 1, vcc_lo
	v_cmp_gt_i32_e32 vcc_lo, 1, v12
	v_or_b32_e32 v8, v20, v8
	s_wait_alu 0xfffd
	v_cndmask_b32_e32 v13, v15, v13, vcc_lo
	v_cmp_gt_i32_e32 vcc_lo, 1, v14
	s_wait_alu 0xfffd
	s_delay_alu instid0(VALU_DEP_2) | instskip(SKIP_2) | instid1(VALU_DEP_3)
	v_dual_cndmask_b32 v8, v18, v8 :: v_dual_and_b32 v15, 7, v13
	v_cmp_ne_u32_e32 vcc_lo, 0, v6
	v_lshrrev_b32_e32 v13, 2, v13
	v_cmp_eq_u32_e64 s0, 3, v15
	s_wait_alu 0xfffd
	v_cndmask_b32_e64 v6, 0, 1, vcc_lo
	v_cmp_ne_u32_e32 vcc_lo, 0, v10
	s_delay_alu instid0(VALU_DEP_2) | instskip(SKIP_3) | instid1(VALU_DEP_2)
	v_lshl_or_b32 v6, v6, 9, 0x7c00
	s_wait_alu 0xfffd
	v_cndmask_b32_e64 v10, 0, 1, vcc_lo
	v_cmp_lt_i32_e32 vcc_lo, 5, v15
	v_lshl_or_b32 v10, v10, 9, 0x7c00
	s_or_b32 vcc_lo, s0, vcc_lo
	s_mul_i32 s0, s5, 0xffffe80c
	s_wait_alu 0xfffe
	v_add_co_ci_u32_e32 v13, vcc_lo, 0, v13, vcc_lo
	v_and_b32_e32 v18, 7, v8
	v_lshrrev_b32_e32 v8, 2, v8
	s_sub_co_i32 s0, s0, s4
	s_wait_alu 0xfffe
	v_add_nc_u32_e32 v1, s0, v1
	v_cmp_lt_i32_e64 s1, 5, v18
	v_cmp_eq_u32_e64 s2, 3, v18
	s_delay_alu instid0(VALU_DEP_1)
	s_or_b32 vcc_lo, s2, s1
	s_wait_alu 0xfffe
	v_add_co_ci_u32_e32 v8, vcc_lo, 0, v8, vcc_lo
	v_cmp_gt_i32_e32 vcc_lo, 31, v12
	s_wait_alu 0xfffd
	v_cndmask_b32_e32 v13, 0x7c00, v13, vcc_lo
	v_cmp_gt_i32_e32 vcc_lo, 31, v14
	s_wait_alu 0xfffd
	v_cndmask_b32_e32 v8, 0x7c00, v8, vcc_lo
	v_cmp_eq_u32_e32 vcc_lo, 0x40f, v12
	s_wait_alu 0xfffd
	v_cndmask_b32_e32 v6, v13, v6, vcc_lo
	v_cmp_eq_u32_e32 vcc_lo, 0x40f, v14
	s_delay_alu instid0(VALU_DEP_2) | instskip(SKIP_2) | instid1(VALU_DEP_2)
	v_and_or_b32 v6, 0x8000, v9, v6
	s_wait_alu 0xfffd
	v_cndmask_b32_e32 v8, v8, v10, vcc_lo
	v_and_b32_e32 v6, 0xffff, v6
	s_delay_alu instid0(VALU_DEP_2) | instskip(NEXT) | instid1(VALU_DEP_1)
	v_and_or_b32 v8, 0x8000, v11, v8
	v_lshl_or_b32 v6, v8, 16, v6
	v_lshrrev_b32_e32 v8, 16, v7
	global_store_b32 v[0:1], v6, off
	global_load_b32 v6, v[16:17], off offset:600
	s_wait_loadcnt 0x0
	v_lshrrev_b32_e32 v9, 16, v6
	s_delay_alu instid0(VALU_DEP_1) | instskip(SKIP_1) | instid1(VALU_DEP_2)
	v_mul_f16_e32 v10, v8, v9
	v_mul_f16_e32 v9, v7, v9
	v_fmac_f16_e32 v10, v7, v6
	s_delay_alu instid0(VALU_DEP_2) | instskip(NEXT) | instid1(VALU_DEP_2)
	v_fma_f16 v6, v6, v8, -v9
	v_cvt_f32_f16_e32 v7, v10
	s_delay_alu instid0(VALU_DEP_2) | instskip(NEXT) | instid1(VALU_DEP_2)
	v_cvt_f32_f16_e32 v8, v6
	v_cvt_f64_f32_e32 v[6:7], v7
	s_delay_alu instid0(VALU_DEP_2) | instskip(NEXT) | instid1(VALU_DEP_2)
	v_cvt_f64_f32_e32 v[8:9], v8
	v_mul_f64_e32 v[6:7], s[8:9], v[6:7]
	s_delay_alu instid0(VALU_DEP_2) | instskip(NEXT) | instid1(VALU_DEP_2)
	v_mul_f64_e32 v[8:9], s[8:9], v[8:9]
	v_and_or_b32 v6, 0x1ff, v7, v6
	s_delay_alu instid0(VALU_DEP_2)
	v_and_or_b32 v8, 0x1ff, v9, v8
	v_lshrrev_b32_e32 v10, 8, v7
	v_bfe_u32 v11, v7, 20, 11
	v_lshrrev_b32_e32 v12, 8, v9
	v_cmp_ne_u32_e32 vcc_lo, 0, v6
	v_bfe_u32 v13, v9, 20, 11
	v_lshrrev_b32_e32 v7, 16, v7
	v_sub_nc_u32_e32 v14, 0x3f1, v11
	v_add_nc_u32_e32 v11, 0xfffffc10, v11
	s_wait_alu 0xfffd
	v_cndmask_b32_e64 v6, 0, 1, vcc_lo
	v_cmp_ne_u32_e32 vcc_lo, 0, v8
	v_lshrrev_b32_e32 v9, 16, v9
	s_delay_alu instid0(VALU_DEP_3) | instskip(SKIP_3) | instid1(VALU_DEP_2)
	v_and_or_b32 v6, 0xffe, v10, v6
	s_wait_alu 0xfffd
	v_cndmask_b32_e64 v8, 0, 1, vcc_lo
	v_sub_nc_u32_e32 v10, 0x3f1, v13
	v_and_or_b32 v8, 0xffe, v12, v8
	v_med3_i32 v12, v14, 0, 13
	v_or_b32_e32 v14, 0x1000, v6
	s_delay_alu instid0(VALU_DEP_4) | instskip(NEXT) | instid1(VALU_DEP_4)
	v_med3_i32 v10, v10, 0, 13
	v_or_b32_e32 v15, 0x1000, v8
	s_delay_alu instid0(VALU_DEP_3) | instskip(NEXT) | instid1(VALU_DEP_2)
	v_lshrrev_b32_e32 v18, v12, v14
	v_lshrrev_b32_e32 v19, v10, v15
	s_delay_alu instid0(VALU_DEP_2) | instskip(NEXT) | instid1(VALU_DEP_2)
	v_lshlrev_b32_e32 v12, v12, v18
	v_lshlrev_b32_e32 v10, v10, v19
	s_delay_alu instid0(VALU_DEP_2) | instskip(SKIP_4) | instid1(VALU_DEP_2)
	v_cmp_ne_u32_e32 vcc_lo, v12, v14
	v_lshl_or_b32 v14, v11, 12, v6
	s_wait_alu 0xfffd
	v_cndmask_b32_e64 v12, 0, 1, vcc_lo
	v_cmp_ne_u32_e32 vcc_lo, v10, v15
	v_or_b32_e32 v12, v18, v12
	s_wait_alu 0xfffd
	v_cndmask_b32_e64 v10, 0, 1, vcc_lo
	v_cmp_gt_i32_e32 vcc_lo, 1, v11
	v_add_nc_u32_e32 v13, 0xfffffc10, v13
	s_delay_alu instid0(VALU_DEP_3) | instskip(SKIP_2) | instid1(VALU_DEP_3)
	v_or_b32_e32 v10, v19, v10
	s_wait_alu 0xfffd
	v_cndmask_b32_e32 v12, v14, v12, vcc_lo
	v_lshl_or_b32 v15, v13, 12, v8
	v_cmp_gt_i32_e32 vcc_lo, 1, v13
	s_delay_alu instid0(VALU_DEP_3)
	v_and_b32_e32 v14, 7, v12
	v_lshrrev_b32_e32 v12, 2, v12
	s_wait_alu 0xfffd
	v_cndmask_b32_e32 v10, v15, v10, vcc_lo
	v_cmp_ne_u32_e32 vcc_lo, 0, v6
	v_cmp_eq_u32_e64 s0, 3, v14
	s_wait_alu 0xfffd
	v_cndmask_b32_e64 v6, 0, 1, vcc_lo
	v_cmp_ne_u32_e32 vcc_lo, 0, v8
	s_delay_alu instid0(VALU_DEP_2) | instskip(SKIP_3) | instid1(VALU_DEP_2)
	v_lshl_or_b32 v6, v6, 9, 0x7c00
	s_wait_alu 0xfffd
	v_cndmask_b32_e64 v8, 0, 1, vcc_lo
	v_cmp_lt_i32_e32 vcc_lo, 5, v14
	v_lshl_or_b32 v8, v8, 9, 0x7c00
	s_or_b32 vcc_lo, s0, vcc_lo
	s_wait_alu 0xfffe
	v_add_co_ci_u32_e32 v12, vcc_lo, 0, v12, vcc_lo
	v_and_b32_e32 v15, 7, v10
	v_lshrrev_b32_e32 v10, 2, v10
	s_delay_alu instid0(VALU_DEP_2) | instskip(SKIP_1) | instid1(VALU_DEP_1)
	v_cmp_lt_i32_e64 s1, 5, v15
	v_cmp_eq_u32_e64 s2, 3, v15
	s_or_b32 vcc_lo, s2, s1
	s_wait_alu 0xfffe
	v_add_co_ci_u32_e32 v10, vcc_lo, 0, v10, vcc_lo
	v_cmp_gt_i32_e32 vcc_lo, 31, v11
	s_wait_alu 0xfffd
	v_cndmask_b32_e32 v12, 0x7c00, v12, vcc_lo
	v_cmp_gt_i32_e32 vcc_lo, 31, v13
	s_wait_alu 0xfffd
	v_cndmask_b32_e32 v10, 0x7c00, v10, vcc_lo
	v_cmp_eq_u32_e32 vcc_lo, 0x40f, v11
	s_wait_alu 0xfffd
	v_cndmask_b32_e32 v6, v12, v6, vcc_lo
	v_cmp_eq_u32_e32 vcc_lo, 0x40f, v13
	s_delay_alu instid0(VALU_DEP_2)
	v_and_or_b32 v6, 0x8000, v7, v6
	s_wait_alu 0xfffd
	v_cndmask_b32_e32 v8, v10, v8, vcc_lo
	v_add_co_u32 v0, vcc_lo, v0, s6
	s_wait_alu 0xfffd
	v_add_co_ci_u32_e32 v1, vcc_lo, s7, v1, vcc_lo
	s_delay_alu instid0(VALU_DEP_3) | instskip(SKIP_1) | instid1(VALU_DEP_1)
	v_and_or_b32 v7, 0x8000, v9, v8
	v_and_b32_e32 v6, 0xffff, v6
	v_lshl_or_b32 v6, v7, 16, v6
	global_store_b32 v[0:1], v6, off
	global_load_b32 v8, v[16:17], off offset:996
	ds_load_2addr_b32 v[6:7], v4 offset0:121 offset1:220
	s_wait_dscnt 0x0
	v_lshrrev_b32_e32 v4, 16, v6
	s_wait_loadcnt 0x0
	v_lshrrev_b32_e32 v9, 16, v8
	s_delay_alu instid0(VALU_DEP_1) | instskip(SKIP_1) | instid1(VALU_DEP_2)
	v_mul_f16_e32 v10, v4, v9
	v_mul_f16_e32 v9, v6, v9
	v_fmac_f16_e32 v10, v6, v8
	s_delay_alu instid0(VALU_DEP_2) | instskip(NEXT) | instid1(VALU_DEP_2)
	v_fma_f16 v4, v8, v4, -v9
	v_cvt_f32_f16_e32 v6, v10
	s_delay_alu instid0(VALU_DEP_2) | instskip(NEXT) | instid1(VALU_DEP_2)
	v_cvt_f32_f16_e32 v4, v4
	v_cvt_f64_f32_e32 v[8:9], v6
	s_delay_alu instid0(VALU_DEP_2) | instskip(NEXT) | instid1(VALU_DEP_2)
	v_cvt_f64_f32_e32 v[10:11], v4
	v_mul_f64_e32 v[8:9], s[8:9], v[8:9]
	s_delay_alu instid0(VALU_DEP_2) | instskip(NEXT) | instid1(VALU_DEP_2)
	v_mul_f64_e32 v[10:11], s[8:9], v[10:11]
	v_and_or_b32 v4, 0x1ff, v9, v8
	s_delay_alu instid0(VALU_DEP_2)
	v_and_or_b32 v10, 0x1ff, v11, v10
	v_lshrrev_b32_e32 v6, 8, v9
	v_bfe_u32 v8, v9, 20, 11
	v_lshrrev_b32_e32 v12, 8, v11
	v_cmp_ne_u32_e32 vcc_lo, 0, v4
	v_bfe_u32 v13, v11, 20, 11
	v_lshrrev_b32_e32 v9, 16, v9
	v_sub_nc_u32_e32 v14, 0x3f1, v8
	v_add_nc_u32_e32 v8, 0xfffffc10, v8
	s_wait_alu 0xfffd
	v_cndmask_b32_e64 v4, 0, 1, vcc_lo
	v_cmp_ne_u32_e32 vcc_lo, 0, v10
	s_delay_alu instid0(VALU_DEP_2) | instskip(SKIP_4) | instid1(VALU_DEP_3)
	v_and_or_b32 v4, 0xffe, v6, v4
	s_wait_alu 0xfffd
	v_cndmask_b32_e64 v10, 0, 1, vcc_lo
	v_sub_nc_u32_e32 v6, 0x3f1, v13
	v_add_nc_u32_e32 v13, 0xfffffc10, v13
	v_and_or_b32 v10, 0xffe, v12, v10
	v_med3_i32 v12, v14, 0, 13
	v_or_b32_e32 v14, 0x1000, v4
	v_med3_i32 v6, v6, 0, 13
	s_delay_alu instid0(VALU_DEP_4) | instskip(NEXT) | instid1(VALU_DEP_3)
	v_or_b32_e32 v15, 0x1000, v10
	v_lshrrev_b32_e32 v18, v12, v14
	s_delay_alu instid0(VALU_DEP_2) | instskip(NEXT) | instid1(VALU_DEP_2)
	v_lshrrev_b32_e32 v19, v6, v15
	v_lshlrev_b32_e32 v12, v12, v18
	s_delay_alu instid0(VALU_DEP_2) | instskip(NEXT) | instid1(VALU_DEP_2)
	v_lshlrev_b32_e32 v6, v6, v19
	v_cmp_ne_u32_e32 vcc_lo, v12, v14
	v_lshl_or_b32 v14, v8, 12, v4
	s_wait_alu 0xfffd
	v_cndmask_b32_e64 v12, 0, 1, vcc_lo
	v_cmp_ne_u32_e32 vcc_lo, v6, v15
	v_lshl_or_b32 v15, v13, 12, v10
	s_delay_alu instid0(VALU_DEP_3) | instskip(SKIP_3) | instid1(VALU_DEP_2)
	v_or_b32_e32 v12, v18, v12
	s_wait_alu 0xfffd
	v_cndmask_b32_e64 v6, 0, 1, vcc_lo
	v_cmp_gt_i32_e32 vcc_lo, 1, v8
	v_or_b32_e32 v6, v19, v6
	s_wait_alu 0xfffd
	v_cndmask_b32_e32 v12, v14, v12, vcc_lo
	v_cmp_gt_i32_e32 vcc_lo, 1, v13
	s_delay_alu instid0(VALU_DEP_2)
	v_and_b32_e32 v14, 7, v12
	s_wait_alu 0xfffd
	v_cndmask_b32_e32 v6, v15, v6, vcc_lo
	v_cmp_ne_u32_e32 vcc_lo, 0, v4
	v_lshrrev_b32_e32 v12, 2, v12
	v_cmp_eq_u32_e64 s0, 3, v14
	s_delay_alu instid0(VALU_DEP_4)
	v_and_b32_e32 v15, 7, v6
	s_wait_alu 0xfffd
	v_cndmask_b32_e64 v4, 0, 1, vcc_lo
	v_cmp_ne_u32_e32 vcc_lo, 0, v10
	v_lshrrev_b32_e32 v6, 2, v6
	v_cmp_lt_i32_e64 s1, 5, v15
	v_cmp_eq_u32_e64 s2, 3, v15
	s_wait_alu 0xfffd
	v_cndmask_b32_e64 v10, 0, 1, vcc_lo
	v_cmp_lt_i32_e32 vcc_lo, 5, v14
	v_lshl_or_b32 v4, v4, 9, 0x7c00
	s_delay_alu instid0(VALU_DEP_3)
	v_lshl_or_b32 v10, v10, 9, 0x7c00
	s_or_b32 vcc_lo, s0, vcc_lo
	s_wait_alu 0xfffe
	v_add_co_ci_u32_e32 v12, vcc_lo, 0, v12, vcc_lo
	s_or_b32 vcc_lo, s2, s1
	s_wait_alu 0xfffe
	v_add_co_ci_u32_e32 v6, vcc_lo, 0, v6, vcc_lo
	v_cmp_gt_i32_e32 vcc_lo, 31, v8
	s_wait_alu 0xfffd
	v_cndmask_b32_e32 v12, 0x7c00, v12, vcc_lo
	v_cmp_gt_i32_e32 vcc_lo, 31, v13
	s_wait_alu 0xfffd
	v_cndmask_b32_e32 v6, 0x7c00, v6, vcc_lo
	v_cmp_eq_u32_e32 vcc_lo, 0x40f, v8
	v_lshrrev_b32_e32 v8, 16, v11
	s_wait_alu 0xfffd
	v_cndmask_b32_e32 v4, v12, v4, vcc_lo
	v_cmp_eq_u32_e32 vcc_lo, 0x40f, v13
	s_delay_alu instid0(VALU_DEP_2)
	v_and_or_b32 v4, 0x8000, v9, v4
	s_wait_alu 0xfffd
	v_cndmask_b32_e32 v6, v6, v10, vcc_lo
	v_add_co_u32 v0, vcc_lo, v0, s6
	s_wait_alu 0xfffd
	v_add_co_ci_u32_e32 v1, vcc_lo, s7, v1, vcc_lo
	s_delay_alu instid0(VALU_DEP_3) | instskip(SKIP_1) | instid1(VALU_DEP_1)
	v_and_or_b32 v6, 0x8000, v8, v6
	v_and_b32_e32 v4, 0xffff, v4
	v_lshl_or_b32 v4, v6, 16, v4
	v_lshrrev_b32_e32 v6, 16, v7
	global_store_b32 v[0:1], v4, off
	global_load_b32 v4, v[16:17], off offset:1392
	s_wait_loadcnt 0x0
	v_lshrrev_b32_e32 v8, 16, v4
	s_delay_alu instid0(VALU_DEP_1) | instskip(SKIP_1) | instid1(VALU_DEP_2)
	v_mul_f16_e32 v9, v6, v8
	v_mul_f16_e32 v8, v7, v8
	v_fmac_f16_e32 v9, v7, v4
	s_delay_alu instid0(VALU_DEP_2) | instskip(NEXT) | instid1(VALU_DEP_2)
	v_fma_f16 v4, v4, v6, -v8
	v_cvt_f32_f16_e32 v6, v9
	s_delay_alu instid0(VALU_DEP_2) | instskip(NEXT) | instid1(VALU_DEP_2)
	v_cvt_f32_f16_e32 v4, v4
	v_cvt_f64_f32_e32 v[6:7], v6
	s_delay_alu instid0(VALU_DEP_2) | instskip(NEXT) | instid1(VALU_DEP_2)
	v_cvt_f64_f32_e32 v[8:9], v4
	v_mul_f64_e32 v[6:7], s[8:9], v[6:7]
	s_delay_alu instid0(VALU_DEP_2) | instskip(NEXT) | instid1(VALU_DEP_2)
	v_mul_f64_e32 v[8:9], s[8:9], v[8:9]
	v_and_or_b32 v4, 0x1ff, v7, v6
	s_delay_alu instid0(VALU_DEP_2)
	v_and_or_b32 v8, 0x1ff, v9, v8
	v_lshrrev_b32_e32 v6, 8, v7
	v_bfe_u32 v10, v7, 20, 11
	v_lshrrev_b32_e32 v11, 8, v9
	v_cmp_ne_u32_e32 vcc_lo, 0, v4
	v_bfe_u32 v12, v9, 20, 11
	v_lshrrev_b32_e32 v7, 16, v7
	v_sub_nc_u32_e32 v13, 0x3f1, v10
	v_add_nc_u32_e32 v10, 0xfffffc10, v10
	s_wait_alu 0xfffd
	v_cndmask_b32_e64 v4, 0, 1, vcc_lo
	v_cmp_ne_u32_e32 vcc_lo, 0, v8
	v_lshrrev_b32_e32 v9, 16, v9
	s_delay_alu instid0(VALU_DEP_3) | instskip(SKIP_4) | instid1(VALU_DEP_3)
	v_and_or_b32 v4, 0xffe, v6, v4
	s_wait_alu 0xfffd
	v_cndmask_b32_e64 v8, 0, 1, vcc_lo
	v_sub_nc_u32_e32 v6, 0x3f1, v12
	v_add_nc_u32_e32 v12, 0xfffffc10, v12
	v_and_or_b32 v8, 0xffe, v11, v8
	v_med3_i32 v11, v13, 0, 13
	v_or_b32_e32 v13, 0x1000, v4
	v_med3_i32 v6, v6, 0, 13
	s_delay_alu instid0(VALU_DEP_4) | instskip(NEXT) | instid1(VALU_DEP_3)
	v_or_b32_e32 v14, 0x1000, v8
	v_lshrrev_b32_e32 v15, v11, v13
	s_delay_alu instid0(VALU_DEP_2) | instskip(NEXT) | instid1(VALU_DEP_2)
	v_lshrrev_b32_e32 v18, v6, v14
	v_lshlrev_b32_e32 v11, v11, v15
	s_delay_alu instid0(VALU_DEP_2) | instskip(NEXT) | instid1(VALU_DEP_2)
	v_lshlrev_b32_e32 v6, v6, v18
	v_cmp_ne_u32_e32 vcc_lo, v11, v13
	v_lshl_or_b32 v13, v10, 12, v4
	s_wait_alu 0xfffd
	v_cndmask_b32_e64 v11, 0, 1, vcc_lo
	v_cmp_ne_u32_e32 vcc_lo, v6, v14
	v_lshl_or_b32 v14, v12, 12, v8
	s_delay_alu instid0(VALU_DEP_3) | instskip(SKIP_3) | instid1(VALU_DEP_2)
	v_or_b32_e32 v11, v15, v11
	s_wait_alu 0xfffd
	v_cndmask_b32_e64 v6, 0, 1, vcc_lo
	v_cmp_gt_i32_e32 vcc_lo, 1, v10
	v_or_b32_e32 v6, v18, v6
	s_wait_alu 0xfffd
	v_cndmask_b32_e32 v11, v13, v11, vcc_lo
	v_cmp_gt_i32_e32 vcc_lo, 1, v12
	s_wait_alu 0xfffd
	s_delay_alu instid0(VALU_DEP_2) | instskip(SKIP_2) | instid1(VALU_DEP_3)
	v_dual_cndmask_b32 v6, v14, v6 :: v_dual_and_b32 v13, 7, v11
	v_cmp_ne_u32_e32 vcc_lo, 0, v4
	v_lshrrev_b32_e32 v11, 2, v11
	v_cmp_eq_u32_e64 s0, 3, v13
	s_delay_alu instid0(VALU_DEP_4)
	v_and_b32_e32 v14, 7, v6
	s_wait_alu 0xfffd
	v_cndmask_b32_e64 v4, 0, 1, vcc_lo
	v_cmp_ne_u32_e32 vcc_lo, 0, v8
	v_lshrrev_b32_e32 v6, 2, v6
	v_cmp_lt_i32_e64 s1, 5, v14
	v_cmp_eq_u32_e64 s2, 3, v14
	s_wait_alu 0xfffd
	v_cndmask_b32_e64 v8, 0, 1, vcc_lo
	v_cmp_lt_i32_e32 vcc_lo, 5, v13
	v_lshl_or_b32 v4, v4, 9, 0x7c00
	s_delay_alu instid0(VALU_DEP_3)
	v_lshl_or_b32 v8, v8, 9, 0x7c00
	s_or_b32 vcc_lo, s0, vcc_lo
	s_wait_alu 0xfffe
	v_add_co_ci_u32_e32 v11, vcc_lo, 0, v11, vcc_lo
	s_or_b32 vcc_lo, s2, s1
	s_wait_alu 0xfffe
	v_add_co_ci_u32_e32 v6, vcc_lo, 0, v6, vcc_lo
	v_cmp_gt_i32_e32 vcc_lo, 31, v10
	s_wait_alu 0xfffd
	v_cndmask_b32_e32 v11, 0x7c00, v11, vcc_lo
	v_cmp_gt_i32_e32 vcc_lo, 31, v12
	s_wait_alu 0xfffd
	v_cndmask_b32_e32 v6, 0x7c00, v6, vcc_lo
	v_cmp_eq_u32_e32 vcc_lo, 0x40f, v10
	s_wait_alu 0xfffd
	v_cndmask_b32_e32 v4, v11, v4, vcc_lo
	v_cmp_eq_u32_e32 vcc_lo, 0x40f, v12
	s_delay_alu instid0(VALU_DEP_2)
	v_and_or_b32 v4, 0x8000, v7, v4
	s_wait_alu 0xfffd
	v_cndmask_b32_e32 v6, v6, v8, vcc_lo
	v_add_co_u32 v0, vcc_lo, v0, s6
	s_wait_alu 0xfffd
	v_add_co_ci_u32_e32 v1, vcc_lo, s7, v1, vcc_lo
	s_delay_alu instid0(VALU_DEP_3) | instskip(SKIP_1) | instid1(VALU_DEP_1)
	v_and_or_b32 v6, 0x8000, v9, v6
	v_and_b32_e32 v4, 0xffff, v4
	v_lshl_or_b32 v4, v6, 16, v4
	ds_load_2addr_b32 v[6:7], v83 offset0:63 offset1:162
	global_store_b32 v[0:1], v4, off
	global_load_b32 v4, v[16:17], off offset:1788
	s_wait_dscnt 0x0
	v_lshrrev_b32_e32 v8, 16, v6
	s_wait_loadcnt 0x0
	v_lshrrev_b32_e32 v9, 16, v4
	s_delay_alu instid0(VALU_DEP_1) | instskip(SKIP_1) | instid1(VALU_DEP_2)
	v_mul_f16_e32 v10, v8, v9
	v_mul_f16_e32 v9, v6, v9
	v_fmac_f16_e32 v10, v6, v4
	s_delay_alu instid0(VALU_DEP_2) | instskip(NEXT) | instid1(VALU_DEP_2)
	v_fma_f16 v4, v4, v8, -v9
	v_cvt_f32_f16_e32 v6, v10
	s_delay_alu instid0(VALU_DEP_2) | instskip(NEXT) | instid1(VALU_DEP_2)
	v_cvt_f32_f16_e32 v4, v4
	v_cvt_f64_f32_e32 v[8:9], v6
	s_delay_alu instid0(VALU_DEP_2) | instskip(NEXT) | instid1(VALU_DEP_2)
	v_cvt_f64_f32_e32 v[10:11], v4
	v_mul_f64_e32 v[8:9], s[8:9], v[8:9]
	s_delay_alu instid0(VALU_DEP_2) | instskip(NEXT) | instid1(VALU_DEP_2)
	v_mul_f64_e32 v[10:11], s[8:9], v[10:11]
	v_and_or_b32 v4, 0x1ff, v9, v8
	s_delay_alu instid0(VALU_DEP_2)
	v_and_or_b32 v10, 0x1ff, v11, v10
	v_lshrrev_b32_e32 v6, 8, v9
	v_bfe_u32 v8, v9, 20, 11
	v_lshrrev_b32_e32 v12, 8, v11
	v_cmp_ne_u32_e32 vcc_lo, 0, v4
	v_bfe_u32 v13, v11, 20, 11
	v_lshrrev_b32_e32 v9, 16, v9
	v_sub_nc_u32_e32 v14, 0x3f1, v8
	v_add_nc_u32_e32 v8, 0xfffffc10, v8
	s_wait_alu 0xfffd
	v_cndmask_b32_e64 v4, 0, 1, vcc_lo
	v_cmp_ne_u32_e32 vcc_lo, 0, v10
	s_delay_alu instid0(VALU_DEP_2) | instskip(SKIP_4) | instid1(VALU_DEP_3)
	v_and_or_b32 v4, 0xffe, v6, v4
	s_wait_alu 0xfffd
	v_cndmask_b32_e64 v10, 0, 1, vcc_lo
	v_sub_nc_u32_e32 v6, 0x3f1, v13
	v_add_nc_u32_e32 v13, 0xfffffc10, v13
	v_and_or_b32 v10, 0xffe, v12, v10
	v_med3_i32 v12, v14, 0, 13
	v_or_b32_e32 v14, 0x1000, v4
	v_med3_i32 v6, v6, 0, 13
	s_delay_alu instid0(VALU_DEP_4) | instskip(NEXT) | instid1(VALU_DEP_3)
	v_or_b32_e32 v15, 0x1000, v10
	v_lshrrev_b32_e32 v18, v12, v14
	s_delay_alu instid0(VALU_DEP_2) | instskip(NEXT) | instid1(VALU_DEP_2)
	v_lshrrev_b32_e32 v19, v6, v15
	v_lshlrev_b32_e32 v12, v12, v18
	s_delay_alu instid0(VALU_DEP_2) | instskip(NEXT) | instid1(VALU_DEP_2)
	v_lshlrev_b32_e32 v6, v6, v19
	v_cmp_ne_u32_e32 vcc_lo, v12, v14
	v_lshl_or_b32 v14, v8, 12, v4
	s_wait_alu 0xfffd
	v_cndmask_b32_e64 v12, 0, 1, vcc_lo
	v_cmp_ne_u32_e32 vcc_lo, v6, v15
	v_lshl_or_b32 v15, v13, 12, v10
	s_delay_alu instid0(VALU_DEP_3) | instskip(SKIP_3) | instid1(VALU_DEP_2)
	v_or_b32_e32 v12, v18, v12
	s_wait_alu 0xfffd
	v_cndmask_b32_e64 v6, 0, 1, vcc_lo
	v_cmp_gt_i32_e32 vcc_lo, 1, v8
	v_or_b32_e32 v6, v19, v6
	s_wait_alu 0xfffd
	v_cndmask_b32_e32 v12, v14, v12, vcc_lo
	v_cmp_gt_i32_e32 vcc_lo, 1, v13
	s_delay_alu instid0(VALU_DEP_2)
	v_and_b32_e32 v14, 7, v12
	s_wait_alu 0xfffd
	v_cndmask_b32_e32 v6, v15, v6, vcc_lo
	v_cmp_ne_u32_e32 vcc_lo, 0, v4
	v_lshrrev_b32_e32 v12, 2, v12
	v_cmp_eq_u32_e64 s0, 3, v14
	s_delay_alu instid0(VALU_DEP_4)
	v_and_b32_e32 v15, 7, v6
	s_wait_alu 0xfffd
	v_cndmask_b32_e64 v4, 0, 1, vcc_lo
	v_cmp_ne_u32_e32 vcc_lo, 0, v10
	v_lshrrev_b32_e32 v6, 2, v6
	v_cmp_lt_i32_e64 s1, 5, v15
	v_cmp_eq_u32_e64 s2, 3, v15
	s_wait_alu 0xfffd
	v_cndmask_b32_e64 v10, 0, 1, vcc_lo
	v_cmp_lt_i32_e32 vcc_lo, 5, v14
	v_lshl_or_b32 v4, v4, 9, 0x7c00
	s_delay_alu instid0(VALU_DEP_3)
	v_lshl_or_b32 v10, v10, 9, 0x7c00
	s_or_b32 vcc_lo, s0, vcc_lo
	s_wait_alu 0xfffe
	v_add_co_ci_u32_e32 v12, vcc_lo, 0, v12, vcc_lo
	s_or_b32 vcc_lo, s2, s1
	s_wait_alu 0xfffe
	v_add_co_ci_u32_e32 v6, vcc_lo, 0, v6, vcc_lo
	v_cmp_gt_i32_e32 vcc_lo, 31, v8
	s_wait_alu 0xfffd
	v_cndmask_b32_e32 v12, 0x7c00, v12, vcc_lo
	v_cmp_gt_i32_e32 vcc_lo, 31, v13
	s_wait_alu 0xfffd
	v_cndmask_b32_e32 v6, 0x7c00, v6, vcc_lo
	v_cmp_eq_u32_e32 vcc_lo, 0x40f, v8
	v_lshrrev_b32_e32 v8, 16, v11
	s_wait_alu 0xfffd
	v_cndmask_b32_e32 v4, v12, v4, vcc_lo
	v_cmp_eq_u32_e32 vcc_lo, 0x40f, v13
	s_delay_alu instid0(VALU_DEP_2)
	v_and_or_b32 v4, 0x8000, v9, v4
	s_wait_alu 0xfffd
	v_cndmask_b32_e32 v6, v6, v10, vcc_lo
	v_add_co_u32 v0, vcc_lo, v0, s6
	s_wait_alu 0xfffd
	v_add_co_ci_u32_e32 v1, vcc_lo, s7, v1, vcc_lo
	s_delay_alu instid0(VALU_DEP_3) | instskip(SKIP_1) | instid1(VALU_DEP_1)
	v_and_or_b32 v6, 0x8000, v8, v6
	v_and_b32_e32 v4, 0xffff, v4
	v_lshl_or_b32 v4, v6, 16, v4
	v_lshrrev_b32_e32 v6, 16, v7
	global_store_b32 v[0:1], v4, off
	global_load_b32 v4, v[16:17], off offset:2184
	s_wait_loadcnt 0x0
	v_lshrrev_b32_e32 v8, 16, v4
	s_delay_alu instid0(VALU_DEP_1) | instskip(SKIP_1) | instid1(VALU_DEP_2)
	v_mul_f16_e32 v9, v6, v8
	v_mul_f16_e32 v8, v7, v8
	v_fmac_f16_e32 v9, v7, v4
	s_delay_alu instid0(VALU_DEP_2) | instskip(NEXT) | instid1(VALU_DEP_2)
	v_fma_f16 v4, v4, v6, -v8
	v_cvt_f32_f16_e32 v6, v9
	s_delay_alu instid0(VALU_DEP_2) | instskip(NEXT) | instid1(VALU_DEP_2)
	v_cvt_f32_f16_e32 v4, v4
	v_cvt_f64_f32_e32 v[6:7], v6
	s_delay_alu instid0(VALU_DEP_2) | instskip(NEXT) | instid1(VALU_DEP_2)
	v_cvt_f64_f32_e32 v[8:9], v4
	v_mul_f64_e32 v[6:7], s[8:9], v[6:7]
	s_delay_alu instid0(VALU_DEP_2) | instskip(NEXT) | instid1(VALU_DEP_2)
	v_mul_f64_e32 v[8:9], s[8:9], v[8:9]
	v_and_or_b32 v4, 0x1ff, v7, v6
	s_delay_alu instid0(VALU_DEP_2)
	v_and_or_b32 v8, 0x1ff, v9, v8
	v_lshrrev_b32_e32 v6, 8, v7
	v_bfe_u32 v10, v7, 20, 11
	v_lshrrev_b32_e32 v11, 8, v9
	v_cmp_ne_u32_e32 vcc_lo, 0, v4
	v_bfe_u32 v12, v9, 20, 11
	v_lshrrev_b32_e32 v7, 16, v7
	v_sub_nc_u32_e32 v13, 0x3f1, v10
	v_add_nc_u32_e32 v10, 0xfffffc10, v10
	s_wait_alu 0xfffd
	v_cndmask_b32_e64 v4, 0, 1, vcc_lo
	v_cmp_ne_u32_e32 vcc_lo, 0, v8
	v_lshrrev_b32_e32 v9, 16, v9
	s_delay_alu instid0(VALU_DEP_3) | instskip(SKIP_4) | instid1(VALU_DEP_3)
	v_and_or_b32 v4, 0xffe, v6, v4
	s_wait_alu 0xfffd
	v_cndmask_b32_e64 v8, 0, 1, vcc_lo
	v_sub_nc_u32_e32 v6, 0x3f1, v12
	v_add_nc_u32_e32 v12, 0xfffffc10, v12
	v_and_or_b32 v8, 0xffe, v11, v8
	v_med3_i32 v11, v13, 0, 13
	v_or_b32_e32 v13, 0x1000, v4
	v_med3_i32 v6, v6, 0, 13
	s_delay_alu instid0(VALU_DEP_4) | instskip(NEXT) | instid1(VALU_DEP_3)
	v_or_b32_e32 v14, 0x1000, v8
	v_lshrrev_b32_e32 v15, v11, v13
	s_delay_alu instid0(VALU_DEP_2) | instskip(NEXT) | instid1(VALU_DEP_2)
	v_lshrrev_b32_e32 v18, v6, v14
	v_lshlrev_b32_e32 v11, v11, v15
	s_delay_alu instid0(VALU_DEP_2) | instskip(NEXT) | instid1(VALU_DEP_2)
	v_lshlrev_b32_e32 v6, v6, v18
	v_cmp_ne_u32_e32 vcc_lo, v11, v13
	v_lshl_or_b32 v13, v10, 12, v4
	s_wait_alu 0xfffd
	v_cndmask_b32_e64 v11, 0, 1, vcc_lo
	v_cmp_ne_u32_e32 vcc_lo, v6, v14
	v_lshl_or_b32 v14, v12, 12, v8
	s_delay_alu instid0(VALU_DEP_3) | instskip(SKIP_3) | instid1(VALU_DEP_2)
	v_or_b32_e32 v11, v15, v11
	s_wait_alu 0xfffd
	v_cndmask_b32_e64 v6, 0, 1, vcc_lo
	v_cmp_gt_i32_e32 vcc_lo, 1, v10
	v_or_b32_e32 v6, v18, v6
	s_wait_alu 0xfffd
	v_cndmask_b32_e32 v11, v13, v11, vcc_lo
	v_cmp_gt_i32_e32 vcc_lo, 1, v12
	s_wait_alu 0xfffd
	s_delay_alu instid0(VALU_DEP_2) | instskip(SKIP_2) | instid1(VALU_DEP_3)
	v_dual_cndmask_b32 v6, v14, v6 :: v_dual_and_b32 v13, 7, v11
	v_cmp_ne_u32_e32 vcc_lo, 0, v4
	v_lshrrev_b32_e32 v11, 2, v11
	v_cmp_eq_u32_e64 s0, 3, v13
	s_delay_alu instid0(VALU_DEP_4)
	v_and_b32_e32 v14, 7, v6
	s_wait_alu 0xfffd
	v_cndmask_b32_e64 v4, 0, 1, vcc_lo
	v_cmp_ne_u32_e32 vcc_lo, 0, v8
	v_lshrrev_b32_e32 v6, 2, v6
	v_cmp_lt_i32_e64 s1, 5, v14
	v_cmp_eq_u32_e64 s2, 3, v14
	s_wait_alu 0xfffd
	v_cndmask_b32_e64 v8, 0, 1, vcc_lo
	v_cmp_lt_i32_e32 vcc_lo, 5, v13
	v_lshl_or_b32 v4, v4, 9, 0x7c00
	s_delay_alu instid0(VALU_DEP_3)
	v_lshl_or_b32 v8, v8, 9, 0x7c00
	s_or_b32 vcc_lo, s0, vcc_lo
	s_wait_alu 0xfffe
	v_add_co_ci_u32_e32 v11, vcc_lo, 0, v11, vcc_lo
	s_or_b32 vcc_lo, s2, s1
	s_wait_alu 0xfffe
	v_add_co_ci_u32_e32 v6, vcc_lo, 0, v6, vcc_lo
	v_cmp_gt_i32_e32 vcc_lo, 31, v10
	s_wait_alu 0xfffd
	v_cndmask_b32_e32 v11, 0x7c00, v11, vcc_lo
	v_cmp_gt_i32_e32 vcc_lo, 31, v12
	s_wait_alu 0xfffd
	v_cndmask_b32_e32 v6, 0x7c00, v6, vcc_lo
	v_cmp_eq_u32_e32 vcc_lo, 0x40f, v10
	s_wait_alu 0xfffd
	v_cndmask_b32_e32 v4, v11, v4, vcc_lo
	v_cmp_eq_u32_e32 vcc_lo, 0x40f, v12
	s_delay_alu instid0(VALU_DEP_2)
	v_and_or_b32 v4, 0x8000, v7, v4
	s_wait_alu 0xfffd
	v_cndmask_b32_e32 v6, v6, v8, vcc_lo
	v_add_co_u32 v0, vcc_lo, v0, s6
	s_wait_alu 0xfffd
	v_add_co_ci_u32_e32 v1, vcc_lo, s7, v1, vcc_lo
	s_delay_alu instid0(VALU_DEP_3) | instskip(SKIP_1) | instid1(VALU_DEP_1)
	v_and_or_b32 v6, 0x8000, v9, v6
	v_and_b32_e32 v4, 0xffff, v4
	v_lshl_or_b32 v4, v6, 16, v4
	ds_load_2addr_b32 v[6:7], v82 offset0:133 offset1:232
	global_store_b32 v[0:1], v4, off
	global_load_b32 v4, v[16:17], off offset:2580
	s_wait_dscnt 0x0
	v_lshrrev_b32_e32 v8, 16, v6
	s_wait_loadcnt 0x0
	v_lshrrev_b32_e32 v9, 16, v4
	s_delay_alu instid0(VALU_DEP_1) | instskip(SKIP_1) | instid1(VALU_DEP_2)
	v_mul_f16_e32 v10, v8, v9
	v_mul_f16_e32 v9, v6, v9
	v_fmac_f16_e32 v10, v6, v4
	s_delay_alu instid0(VALU_DEP_2) | instskip(NEXT) | instid1(VALU_DEP_2)
	v_fma_f16 v4, v4, v8, -v9
	v_cvt_f32_f16_e32 v6, v10
	s_delay_alu instid0(VALU_DEP_2) | instskip(NEXT) | instid1(VALU_DEP_2)
	v_cvt_f32_f16_e32 v4, v4
	v_cvt_f64_f32_e32 v[8:9], v6
	s_delay_alu instid0(VALU_DEP_2) | instskip(NEXT) | instid1(VALU_DEP_2)
	v_cvt_f64_f32_e32 v[10:11], v4
	v_mul_f64_e32 v[8:9], s[8:9], v[8:9]
	s_delay_alu instid0(VALU_DEP_2) | instskip(NEXT) | instid1(VALU_DEP_2)
	v_mul_f64_e32 v[10:11], s[8:9], v[10:11]
	v_and_or_b32 v4, 0x1ff, v9, v8
	s_delay_alu instid0(VALU_DEP_2)
	v_and_or_b32 v10, 0x1ff, v11, v10
	v_lshrrev_b32_e32 v6, 8, v9
	v_bfe_u32 v8, v9, 20, 11
	v_lshrrev_b32_e32 v12, 8, v11
	v_cmp_ne_u32_e32 vcc_lo, 0, v4
	v_bfe_u32 v13, v11, 20, 11
	v_lshrrev_b32_e32 v9, 16, v9
	v_sub_nc_u32_e32 v14, 0x3f1, v8
	v_add_nc_u32_e32 v8, 0xfffffc10, v8
	s_wait_alu 0xfffd
	v_cndmask_b32_e64 v4, 0, 1, vcc_lo
	v_cmp_ne_u32_e32 vcc_lo, 0, v10
	s_delay_alu instid0(VALU_DEP_2) | instskip(SKIP_4) | instid1(VALU_DEP_3)
	v_and_or_b32 v4, 0xffe, v6, v4
	s_wait_alu 0xfffd
	v_cndmask_b32_e64 v10, 0, 1, vcc_lo
	v_sub_nc_u32_e32 v6, 0x3f1, v13
	v_add_nc_u32_e32 v13, 0xfffffc10, v13
	v_and_or_b32 v10, 0xffe, v12, v10
	v_med3_i32 v12, v14, 0, 13
	v_or_b32_e32 v14, 0x1000, v4
	v_med3_i32 v6, v6, 0, 13
	s_delay_alu instid0(VALU_DEP_4) | instskip(NEXT) | instid1(VALU_DEP_3)
	v_or_b32_e32 v15, 0x1000, v10
	v_lshrrev_b32_e32 v18, v12, v14
	s_delay_alu instid0(VALU_DEP_2) | instskip(NEXT) | instid1(VALU_DEP_2)
	v_lshrrev_b32_e32 v19, v6, v15
	v_lshlrev_b32_e32 v12, v12, v18
	s_delay_alu instid0(VALU_DEP_2) | instskip(NEXT) | instid1(VALU_DEP_2)
	v_lshlrev_b32_e32 v6, v6, v19
	v_cmp_ne_u32_e32 vcc_lo, v12, v14
	v_lshl_or_b32 v14, v8, 12, v4
	s_wait_alu 0xfffd
	v_cndmask_b32_e64 v12, 0, 1, vcc_lo
	v_cmp_ne_u32_e32 vcc_lo, v6, v15
	v_lshl_or_b32 v15, v13, 12, v10
	s_delay_alu instid0(VALU_DEP_3) | instskip(SKIP_3) | instid1(VALU_DEP_2)
	v_or_b32_e32 v12, v18, v12
	s_wait_alu 0xfffd
	v_cndmask_b32_e64 v6, 0, 1, vcc_lo
	v_cmp_gt_i32_e32 vcc_lo, 1, v8
	v_or_b32_e32 v6, v19, v6
	s_wait_alu 0xfffd
	v_cndmask_b32_e32 v12, v14, v12, vcc_lo
	v_cmp_gt_i32_e32 vcc_lo, 1, v13
	s_delay_alu instid0(VALU_DEP_2)
	v_and_b32_e32 v14, 7, v12
	s_wait_alu 0xfffd
	v_cndmask_b32_e32 v6, v15, v6, vcc_lo
	v_cmp_ne_u32_e32 vcc_lo, 0, v4
	v_lshrrev_b32_e32 v12, 2, v12
	v_cmp_eq_u32_e64 s0, 3, v14
	s_delay_alu instid0(VALU_DEP_4)
	v_and_b32_e32 v15, 7, v6
	s_wait_alu 0xfffd
	v_cndmask_b32_e64 v4, 0, 1, vcc_lo
	v_cmp_ne_u32_e32 vcc_lo, 0, v10
	v_lshrrev_b32_e32 v6, 2, v6
	v_cmp_lt_i32_e64 s1, 5, v15
	v_cmp_eq_u32_e64 s2, 3, v15
	s_wait_alu 0xfffd
	v_cndmask_b32_e64 v10, 0, 1, vcc_lo
	v_cmp_lt_i32_e32 vcc_lo, 5, v14
	v_lshl_or_b32 v4, v4, 9, 0x7c00
	s_delay_alu instid0(VALU_DEP_3)
	v_lshl_or_b32 v10, v10, 9, 0x7c00
	s_or_b32 vcc_lo, s0, vcc_lo
	s_wait_alu 0xfffe
	v_add_co_ci_u32_e32 v12, vcc_lo, 0, v12, vcc_lo
	s_or_b32 vcc_lo, s2, s1
	s_wait_alu 0xfffe
	v_add_co_ci_u32_e32 v6, vcc_lo, 0, v6, vcc_lo
	v_cmp_gt_i32_e32 vcc_lo, 31, v8
	s_wait_alu 0xfffd
	v_cndmask_b32_e32 v12, 0x7c00, v12, vcc_lo
	v_cmp_gt_i32_e32 vcc_lo, 31, v13
	s_wait_alu 0xfffd
	v_cndmask_b32_e32 v6, 0x7c00, v6, vcc_lo
	v_cmp_eq_u32_e32 vcc_lo, 0x40f, v8
	v_lshrrev_b32_e32 v8, 16, v11
	s_wait_alu 0xfffd
	v_cndmask_b32_e32 v4, v12, v4, vcc_lo
	v_cmp_eq_u32_e32 vcc_lo, 0x40f, v13
	s_delay_alu instid0(VALU_DEP_2)
	v_and_or_b32 v4, 0x8000, v9, v4
	s_wait_alu 0xfffd
	v_cndmask_b32_e32 v6, v6, v10, vcc_lo
	v_add_co_u32 v0, vcc_lo, v0, s6
	s_wait_alu 0xfffd
	v_add_co_ci_u32_e32 v1, vcc_lo, s7, v1, vcc_lo
	s_delay_alu instid0(VALU_DEP_3) | instskip(SKIP_1) | instid1(VALU_DEP_1)
	v_and_or_b32 v6, 0x8000, v8, v6
	v_and_b32_e32 v4, 0xffff, v4
	v_lshl_or_b32 v4, v6, 16, v4
	v_lshrrev_b32_e32 v6, 16, v7
	global_store_b32 v[0:1], v4, off
	global_load_b32 v4, v[16:17], off offset:2976
	s_wait_loadcnt 0x0
	v_lshrrev_b32_e32 v8, 16, v4
	s_delay_alu instid0(VALU_DEP_1) | instskip(SKIP_1) | instid1(VALU_DEP_2)
	v_mul_f16_e32 v9, v6, v8
	v_mul_f16_e32 v8, v7, v8
	v_fmac_f16_e32 v9, v7, v4
	s_delay_alu instid0(VALU_DEP_2) | instskip(NEXT) | instid1(VALU_DEP_2)
	v_fma_f16 v4, v4, v6, -v8
	v_cvt_f32_f16_e32 v6, v9
	s_delay_alu instid0(VALU_DEP_2) | instskip(NEXT) | instid1(VALU_DEP_2)
	v_cvt_f32_f16_e32 v4, v4
	v_cvt_f64_f32_e32 v[6:7], v6
	s_delay_alu instid0(VALU_DEP_2) | instskip(NEXT) | instid1(VALU_DEP_2)
	v_cvt_f64_f32_e32 v[8:9], v4
	v_mul_f64_e32 v[6:7], s[8:9], v[6:7]
	s_delay_alu instid0(VALU_DEP_2) | instskip(NEXT) | instid1(VALU_DEP_2)
	v_mul_f64_e32 v[8:9], s[8:9], v[8:9]
	v_and_or_b32 v4, 0x1ff, v7, v6
	s_delay_alu instid0(VALU_DEP_2)
	v_and_or_b32 v8, 0x1ff, v9, v8
	v_lshrrev_b32_e32 v6, 8, v7
	v_bfe_u32 v10, v7, 20, 11
	v_lshrrev_b32_e32 v11, 8, v9
	v_cmp_ne_u32_e32 vcc_lo, 0, v4
	v_bfe_u32 v12, v9, 20, 11
	v_lshrrev_b32_e32 v7, 16, v7
	v_sub_nc_u32_e32 v13, 0x3f1, v10
	v_add_nc_u32_e32 v10, 0xfffffc10, v10
	s_wait_alu 0xfffd
	v_cndmask_b32_e64 v4, 0, 1, vcc_lo
	v_cmp_ne_u32_e32 vcc_lo, 0, v8
	v_lshrrev_b32_e32 v9, 16, v9
	s_delay_alu instid0(VALU_DEP_3) | instskip(SKIP_4) | instid1(VALU_DEP_3)
	v_and_or_b32 v4, 0xffe, v6, v4
	s_wait_alu 0xfffd
	v_cndmask_b32_e64 v8, 0, 1, vcc_lo
	v_sub_nc_u32_e32 v6, 0x3f1, v12
	v_add_nc_u32_e32 v12, 0xfffffc10, v12
	v_and_or_b32 v8, 0xffe, v11, v8
	v_med3_i32 v11, v13, 0, 13
	v_or_b32_e32 v13, 0x1000, v4
	v_med3_i32 v6, v6, 0, 13
	s_delay_alu instid0(VALU_DEP_4) | instskip(NEXT) | instid1(VALU_DEP_3)
	v_or_b32_e32 v14, 0x1000, v8
	v_lshrrev_b32_e32 v15, v11, v13
	s_delay_alu instid0(VALU_DEP_2) | instskip(NEXT) | instid1(VALU_DEP_2)
	v_lshrrev_b32_e32 v18, v6, v14
	v_lshlrev_b32_e32 v11, v11, v15
	s_delay_alu instid0(VALU_DEP_2) | instskip(NEXT) | instid1(VALU_DEP_2)
	v_lshlrev_b32_e32 v6, v6, v18
	v_cmp_ne_u32_e32 vcc_lo, v11, v13
	v_lshl_or_b32 v13, v10, 12, v4
	s_wait_alu 0xfffd
	v_cndmask_b32_e64 v11, 0, 1, vcc_lo
	v_cmp_ne_u32_e32 vcc_lo, v6, v14
	v_lshl_or_b32 v14, v12, 12, v8
	s_delay_alu instid0(VALU_DEP_3) | instskip(SKIP_3) | instid1(VALU_DEP_2)
	v_or_b32_e32 v11, v15, v11
	s_wait_alu 0xfffd
	v_cndmask_b32_e64 v6, 0, 1, vcc_lo
	v_cmp_gt_i32_e32 vcc_lo, 1, v10
	v_or_b32_e32 v6, v18, v6
	s_wait_alu 0xfffd
	v_cndmask_b32_e32 v11, v13, v11, vcc_lo
	v_cmp_gt_i32_e32 vcc_lo, 1, v12
	s_wait_alu 0xfffd
	s_delay_alu instid0(VALU_DEP_2) | instskip(SKIP_2) | instid1(VALU_DEP_3)
	v_dual_cndmask_b32 v6, v14, v6 :: v_dual_and_b32 v13, 7, v11
	v_cmp_ne_u32_e32 vcc_lo, 0, v4
	v_lshrrev_b32_e32 v11, 2, v11
	v_cmp_eq_u32_e64 s0, 3, v13
	s_delay_alu instid0(VALU_DEP_4)
	v_and_b32_e32 v14, 7, v6
	s_wait_alu 0xfffd
	v_cndmask_b32_e64 v4, 0, 1, vcc_lo
	v_cmp_ne_u32_e32 vcc_lo, 0, v8
	v_lshrrev_b32_e32 v6, 2, v6
	v_cmp_lt_i32_e64 s1, 5, v14
	v_cmp_eq_u32_e64 s2, 3, v14
	s_wait_alu 0xfffd
	v_cndmask_b32_e64 v8, 0, 1, vcc_lo
	v_cmp_lt_i32_e32 vcc_lo, 5, v13
	v_lshl_or_b32 v4, v4, 9, 0x7c00
	s_delay_alu instid0(VALU_DEP_3)
	v_lshl_or_b32 v8, v8, 9, 0x7c00
	s_or_b32 vcc_lo, s0, vcc_lo
	s_wait_alu 0xfffe
	v_add_co_ci_u32_e32 v11, vcc_lo, 0, v11, vcc_lo
	s_or_b32 vcc_lo, s2, s1
	s_wait_alu 0xfffe
	v_add_co_ci_u32_e32 v6, vcc_lo, 0, v6, vcc_lo
	v_cmp_gt_i32_e32 vcc_lo, 31, v10
	s_wait_alu 0xfffd
	v_cndmask_b32_e32 v11, 0x7c00, v11, vcc_lo
	v_cmp_gt_i32_e32 vcc_lo, 31, v12
	s_wait_alu 0xfffd
	v_cndmask_b32_e32 v6, 0x7c00, v6, vcc_lo
	v_cmp_eq_u32_e32 vcc_lo, 0x40f, v10
	s_wait_alu 0xfffd
	v_cndmask_b32_e32 v4, v11, v4, vcc_lo
	v_cmp_eq_u32_e32 vcc_lo, 0x40f, v12
	s_delay_alu instid0(VALU_DEP_2)
	v_and_or_b32 v4, 0x8000, v7, v4
	s_wait_alu 0xfffd
	v_cndmask_b32_e32 v6, v6, v8, vcc_lo
	v_add_co_u32 v0, vcc_lo, v0, s6
	s_wait_alu 0xfffd
	v_add_co_ci_u32_e32 v1, vcc_lo, s7, v1, vcc_lo
	s_delay_alu instid0(VALU_DEP_3) | instskip(SKIP_1) | instid1(VALU_DEP_1)
	v_and_or_b32 v6, 0x8000, v9, v6
	v_and_b32_e32 v4, 0xffff, v4
	v_lshl_or_b32 v4, v6, 16, v4
	ds_load_2addr_b32 v[6:7], v81 offset0:75 offset1:174
	global_store_b32 v[0:1], v4, off
	global_load_b32 v4, v[16:17], off offset:3372
	s_wait_dscnt 0x0
	v_lshrrev_b32_e32 v8, 16, v6
	s_wait_loadcnt 0x0
	v_lshrrev_b32_e32 v9, 16, v4
	s_delay_alu instid0(VALU_DEP_1) | instskip(SKIP_1) | instid1(VALU_DEP_2)
	v_mul_f16_e32 v10, v8, v9
	v_mul_f16_e32 v9, v6, v9
	v_fmac_f16_e32 v10, v6, v4
	s_delay_alu instid0(VALU_DEP_2) | instskip(NEXT) | instid1(VALU_DEP_2)
	v_fma_f16 v4, v4, v8, -v9
	v_cvt_f32_f16_e32 v6, v10
	s_delay_alu instid0(VALU_DEP_2) | instskip(NEXT) | instid1(VALU_DEP_2)
	v_cvt_f32_f16_e32 v4, v4
	v_cvt_f64_f32_e32 v[8:9], v6
	s_delay_alu instid0(VALU_DEP_2) | instskip(NEXT) | instid1(VALU_DEP_2)
	v_cvt_f64_f32_e32 v[10:11], v4
	v_mul_f64_e32 v[8:9], s[8:9], v[8:9]
	s_delay_alu instid0(VALU_DEP_2) | instskip(NEXT) | instid1(VALU_DEP_2)
	v_mul_f64_e32 v[10:11], s[8:9], v[10:11]
	v_and_or_b32 v4, 0x1ff, v9, v8
	s_delay_alu instid0(VALU_DEP_2)
	v_and_or_b32 v10, 0x1ff, v11, v10
	v_lshrrev_b32_e32 v6, 8, v9
	v_bfe_u32 v8, v9, 20, 11
	v_lshrrev_b32_e32 v12, 8, v11
	v_cmp_ne_u32_e32 vcc_lo, 0, v4
	v_bfe_u32 v13, v11, 20, 11
	v_lshrrev_b32_e32 v9, 16, v9
	v_sub_nc_u32_e32 v14, 0x3f1, v8
	v_add_nc_u32_e32 v8, 0xfffffc10, v8
	s_wait_alu 0xfffd
	v_cndmask_b32_e64 v4, 0, 1, vcc_lo
	v_cmp_ne_u32_e32 vcc_lo, 0, v10
	s_delay_alu instid0(VALU_DEP_2) | instskip(SKIP_4) | instid1(VALU_DEP_3)
	v_and_or_b32 v4, 0xffe, v6, v4
	s_wait_alu 0xfffd
	v_cndmask_b32_e64 v10, 0, 1, vcc_lo
	v_sub_nc_u32_e32 v6, 0x3f1, v13
	v_add_nc_u32_e32 v13, 0xfffffc10, v13
	v_and_or_b32 v10, 0xffe, v12, v10
	v_med3_i32 v12, v14, 0, 13
	v_or_b32_e32 v14, 0x1000, v4
	v_med3_i32 v6, v6, 0, 13
	s_delay_alu instid0(VALU_DEP_4) | instskip(NEXT) | instid1(VALU_DEP_3)
	v_or_b32_e32 v15, 0x1000, v10
	v_lshrrev_b32_e32 v18, v12, v14
	s_delay_alu instid0(VALU_DEP_2) | instskip(NEXT) | instid1(VALU_DEP_2)
	v_lshrrev_b32_e32 v19, v6, v15
	v_lshlrev_b32_e32 v12, v12, v18
	s_delay_alu instid0(VALU_DEP_2) | instskip(NEXT) | instid1(VALU_DEP_2)
	v_lshlrev_b32_e32 v6, v6, v19
	v_cmp_ne_u32_e32 vcc_lo, v12, v14
	v_lshl_or_b32 v14, v8, 12, v4
	s_wait_alu 0xfffd
	v_cndmask_b32_e64 v12, 0, 1, vcc_lo
	v_cmp_ne_u32_e32 vcc_lo, v6, v15
	v_lshl_or_b32 v15, v13, 12, v10
	s_delay_alu instid0(VALU_DEP_3) | instskip(SKIP_3) | instid1(VALU_DEP_2)
	v_or_b32_e32 v12, v18, v12
	s_wait_alu 0xfffd
	v_cndmask_b32_e64 v6, 0, 1, vcc_lo
	v_cmp_gt_i32_e32 vcc_lo, 1, v8
	v_or_b32_e32 v6, v19, v6
	s_wait_alu 0xfffd
	v_cndmask_b32_e32 v12, v14, v12, vcc_lo
	v_cmp_gt_i32_e32 vcc_lo, 1, v13
	s_delay_alu instid0(VALU_DEP_2)
	v_and_b32_e32 v14, 7, v12
	s_wait_alu 0xfffd
	v_cndmask_b32_e32 v6, v15, v6, vcc_lo
	v_cmp_ne_u32_e32 vcc_lo, 0, v4
	v_lshrrev_b32_e32 v12, 2, v12
	v_cmp_eq_u32_e64 s0, 3, v14
	s_delay_alu instid0(VALU_DEP_4)
	v_and_b32_e32 v15, 7, v6
	s_wait_alu 0xfffd
	v_cndmask_b32_e64 v4, 0, 1, vcc_lo
	v_cmp_ne_u32_e32 vcc_lo, 0, v10
	v_lshrrev_b32_e32 v6, 2, v6
	v_cmp_lt_i32_e64 s1, 5, v15
	v_cmp_eq_u32_e64 s2, 3, v15
	s_wait_alu 0xfffd
	v_cndmask_b32_e64 v10, 0, 1, vcc_lo
	v_cmp_lt_i32_e32 vcc_lo, 5, v14
	v_lshl_or_b32 v4, v4, 9, 0x7c00
	s_delay_alu instid0(VALU_DEP_3)
	v_lshl_or_b32 v10, v10, 9, 0x7c00
	s_or_b32 vcc_lo, s0, vcc_lo
	s_wait_alu 0xfffe
	v_add_co_ci_u32_e32 v12, vcc_lo, 0, v12, vcc_lo
	s_or_b32 vcc_lo, s2, s1
	s_wait_alu 0xfffe
	v_add_co_ci_u32_e32 v6, vcc_lo, 0, v6, vcc_lo
	v_cmp_gt_i32_e32 vcc_lo, 31, v8
	s_wait_alu 0xfffd
	v_cndmask_b32_e32 v12, 0x7c00, v12, vcc_lo
	v_cmp_gt_i32_e32 vcc_lo, 31, v13
	s_wait_alu 0xfffd
	v_cndmask_b32_e32 v6, 0x7c00, v6, vcc_lo
	v_cmp_eq_u32_e32 vcc_lo, 0x40f, v8
	v_lshrrev_b32_e32 v8, 16, v11
	s_wait_alu 0xfffd
	v_cndmask_b32_e32 v4, v12, v4, vcc_lo
	v_cmp_eq_u32_e32 vcc_lo, 0x40f, v13
	s_delay_alu instid0(VALU_DEP_2)
	v_and_or_b32 v4, 0x8000, v9, v4
	s_wait_alu 0xfffd
	v_cndmask_b32_e32 v6, v6, v10, vcc_lo
	v_add_co_u32 v0, vcc_lo, v0, s6
	s_wait_alu 0xfffd
	v_add_co_ci_u32_e32 v1, vcc_lo, s7, v1, vcc_lo
	s_delay_alu instid0(VALU_DEP_3) | instskip(SKIP_1) | instid1(VALU_DEP_1)
	v_and_or_b32 v6, 0x8000, v8, v6
	v_and_b32_e32 v4, 0xffff, v4
	v_lshl_or_b32 v4, v6, 16, v4
	v_lshrrev_b32_e32 v6, 16, v7
	global_store_b32 v[0:1], v4, off
	global_load_b32 v4, v[16:17], off offset:3768
	s_wait_loadcnt 0x0
	v_lshrrev_b32_e32 v8, 16, v4
	s_delay_alu instid0(VALU_DEP_1) | instskip(SKIP_1) | instid1(VALU_DEP_2)
	v_mul_f16_e32 v9, v6, v8
	v_mul_f16_e32 v8, v7, v8
	v_fmac_f16_e32 v9, v7, v4
	s_delay_alu instid0(VALU_DEP_2) | instskip(NEXT) | instid1(VALU_DEP_2)
	v_fma_f16 v4, v4, v6, -v8
	v_cvt_f32_f16_e32 v6, v9
	s_delay_alu instid0(VALU_DEP_2) | instskip(NEXT) | instid1(VALU_DEP_2)
	v_cvt_f32_f16_e32 v4, v4
	v_cvt_f64_f32_e32 v[6:7], v6
	s_delay_alu instid0(VALU_DEP_2) | instskip(NEXT) | instid1(VALU_DEP_2)
	v_cvt_f64_f32_e32 v[8:9], v4
	v_mul_f64_e32 v[6:7], s[8:9], v[6:7]
	s_delay_alu instid0(VALU_DEP_2) | instskip(NEXT) | instid1(VALU_DEP_2)
	v_mul_f64_e32 v[8:9], s[8:9], v[8:9]
	v_and_or_b32 v4, 0x1ff, v7, v6
	s_delay_alu instid0(VALU_DEP_2)
	v_and_or_b32 v8, 0x1ff, v9, v8
	v_lshrrev_b32_e32 v6, 8, v7
	v_bfe_u32 v10, v7, 20, 11
	v_lshrrev_b32_e32 v11, 8, v9
	v_cmp_ne_u32_e32 vcc_lo, 0, v4
	v_bfe_u32 v12, v9, 20, 11
	v_lshrrev_b32_e32 v7, 16, v7
	v_sub_nc_u32_e32 v13, 0x3f1, v10
	v_add_nc_u32_e32 v10, 0xfffffc10, v10
	s_wait_alu 0xfffd
	v_cndmask_b32_e64 v4, 0, 1, vcc_lo
	v_cmp_ne_u32_e32 vcc_lo, 0, v8
	v_lshrrev_b32_e32 v9, 16, v9
	s_delay_alu instid0(VALU_DEP_3) | instskip(SKIP_4) | instid1(VALU_DEP_3)
	v_and_or_b32 v4, 0xffe, v6, v4
	s_wait_alu 0xfffd
	v_cndmask_b32_e64 v8, 0, 1, vcc_lo
	v_sub_nc_u32_e32 v6, 0x3f1, v12
	v_add_nc_u32_e32 v12, 0xfffffc10, v12
	v_and_or_b32 v8, 0xffe, v11, v8
	v_med3_i32 v11, v13, 0, 13
	v_or_b32_e32 v13, 0x1000, v4
	v_med3_i32 v6, v6, 0, 13
	s_delay_alu instid0(VALU_DEP_4) | instskip(NEXT) | instid1(VALU_DEP_3)
	v_or_b32_e32 v14, 0x1000, v8
	v_lshrrev_b32_e32 v15, v11, v13
	s_delay_alu instid0(VALU_DEP_2) | instskip(NEXT) | instid1(VALU_DEP_2)
	v_lshrrev_b32_e32 v18, v6, v14
	v_lshlrev_b32_e32 v11, v11, v15
	s_delay_alu instid0(VALU_DEP_2) | instskip(NEXT) | instid1(VALU_DEP_2)
	v_lshlrev_b32_e32 v6, v6, v18
	v_cmp_ne_u32_e32 vcc_lo, v11, v13
	v_lshl_or_b32 v13, v10, 12, v4
	s_wait_alu 0xfffd
	v_cndmask_b32_e64 v11, 0, 1, vcc_lo
	v_cmp_ne_u32_e32 vcc_lo, v6, v14
	v_lshl_or_b32 v14, v12, 12, v8
	s_delay_alu instid0(VALU_DEP_3) | instskip(SKIP_3) | instid1(VALU_DEP_2)
	v_or_b32_e32 v11, v15, v11
	s_wait_alu 0xfffd
	v_cndmask_b32_e64 v6, 0, 1, vcc_lo
	v_cmp_gt_i32_e32 vcc_lo, 1, v10
	v_or_b32_e32 v6, v18, v6
	s_wait_alu 0xfffd
	v_cndmask_b32_e32 v11, v13, v11, vcc_lo
	v_cmp_gt_i32_e32 vcc_lo, 1, v12
	s_wait_alu 0xfffd
	s_delay_alu instid0(VALU_DEP_2) | instskip(SKIP_2) | instid1(VALU_DEP_3)
	v_dual_cndmask_b32 v6, v14, v6 :: v_dual_and_b32 v13, 7, v11
	v_cmp_ne_u32_e32 vcc_lo, 0, v4
	v_lshrrev_b32_e32 v11, 2, v11
	v_cmp_eq_u32_e64 s0, 3, v13
	s_delay_alu instid0(VALU_DEP_4)
	v_and_b32_e32 v14, 7, v6
	s_wait_alu 0xfffd
	v_cndmask_b32_e64 v4, 0, 1, vcc_lo
	v_cmp_ne_u32_e32 vcc_lo, 0, v8
	v_lshrrev_b32_e32 v6, 2, v6
	v_cmp_lt_i32_e64 s1, 5, v14
	v_cmp_eq_u32_e64 s2, 3, v14
	s_wait_alu 0xfffd
	v_cndmask_b32_e64 v8, 0, 1, vcc_lo
	v_cmp_lt_i32_e32 vcc_lo, 5, v13
	v_lshl_or_b32 v4, v4, 9, 0x7c00
	s_delay_alu instid0(VALU_DEP_3)
	v_lshl_or_b32 v8, v8, 9, 0x7c00
	s_or_b32 vcc_lo, s0, vcc_lo
	s_wait_alu 0xfffe
	v_add_co_ci_u32_e32 v11, vcc_lo, 0, v11, vcc_lo
	s_or_b32 vcc_lo, s2, s1
	s_wait_alu 0xfffe
	v_add_co_ci_u32_e32 v6, vcc_lo, 0, v6, vcc_lo
	v_cmp_gt_i32_e32 vcc_lo, 31, v10
	s_wait_alu 0xfffd
	v_cndmask_b32_e32 v11, 0x7c00, v11, vcc_lo
	v_cmp_gt_i32_e32 vcc_lo, 31, v12
	s_wait_alu 0xfffd
	v_cndmask_b32_e32 v6, 0x7c00, v6, vcc_lo
	v_cmp_eq_u32_e32 vcc_lo, 0x40f, v10
	s_wait_alu 0xfffd
	v_cndmask_b32_e32 v4, v11, v4, vcc_lo
	v_cmp_eq_u32_e32 vcc_lo, 0x40f, v12
	s_delay_alu instid0(VALU_DEP_2)
	v_and_or_b32 v4, 0x8000, v7, v4
	s_wait_alu 0xfffd
	v_cndmask_b32_e32 v6, v6, v8, vcc_lo
	v_add_co_u32 v0, vcc_lo, v0, s6
	s_wait_alu 0xfffd
	v_add_co_ci_u32_e32 v1, vcc_lo, s7, v1, vcc_lo
	s_delay_alu instid0(VALU_DEP_3) | instskip(SKIP_1) | instid1(VALU_DEP_1)
	v_and_or_b32 v6, 0x8000, v9, v6
	v_and_b32_e32 v4, 0xffff, v4
	v_lshl_or_b32 v4, v6, 16, v4
	ds_load_2addr_b32 v[6:7], v80 offset0:17 offset1:116
	global_store_b32 v[0:1], v4, off
	global_load_b32 v4, v[16:17], off offset:4164
	s_wait_dscnt 0x0
	v_lshrrev_b32_e32 v8, 16, v6
	s_wait_loadcnt 0x0
	v_lshrrev_b32_e32 v9, 16, v4
	s_delay_alu instid0(VALU_DEP_1) | instskip(SKIP_1) | instid1(VALU_DEP_2)
	v_mul_f16_e32 v10, v8, v9
	v_mul_f16_e32 v9, v6, v9
	v_fmac_f16_e32 v10, v6, v4
	s_delay_alu instid0(VALU_DEP_2) | instskip(NEXT) | instid1(VALU_DEP_2)
	v_fma_f16 v4, v4, v8, -v9
	v_cvt_f32_f16_e32 v6, v10
	s_delay_alu instid0(VALU_DEP_2) | instskip(NEXT) | instid1(VALU_DEP_2)
	v_cvt_f32_f16_e32 v4, v4
	v_cvt_f64_f32_e32 v[8:9], v6
	s_delay_alu instid0(VALU_DEP_2) | instskip(NEXT) | instid1(VALU_DEP_2)
	v_cvt_f64_f32_e32 v[10:11], v4
	v_mul_f64_e32 v[8:9], s[8:9], v[8:9]
	s_delay_alu instid0(VALU_DEP_2) | instskip(NEXT) | instid1(VALU_DEP_2)
	v_mul_f64_e32 v[10:11], s[8:9], v[10:11]
	v_and_or_b32 v4, 0x1ff, v9, v8
	s_delay_alu instid0(VALU_DEP_2)
	v_and_or_b32 v10, 0x1ff, v11, v10
	v_lshrrev_b32_e32 v6, 8, v9
	v_bfe_u32 v8, v9, 20, 11
	v_lshrrev_b32_e32 v12, 8, v11
	v_cmp_ne_u32_e32 vcc_lo, 0, v4
	v_bfe_u32 v13, v11, 20, 11
	v_lshrrev_b32_e32 v9, 16, v9
	v_sub_nc_u32_e32 v14, 0x3f1, v8
	v_add_nc_u32_e32 v8, 0xfffffc10, v8
	s_wait_alu 0xfffd
	v_cndmask_b32_e64 v4, 0, 1, vcc_lo
	v_cmp_ne_u32_e32 vcc_lo, 0, v10
	s_delay_alu instid0(VALU_DEP_2) | instskip(SKIP_4) | instid1(VALU_DEP_3)
	v_and_or_b32 v4, 0xffe, v6, v4
	s_wait_alu 0xfffd
	v_cndmask_b32_e64 v10, 0, 1, vcc_lo
	v_sub_nc_u32_e32 v6, 0x3f1, v13
	v_add_nc_u32_e32 v13, 0xfffffc10, v13
	v_and_or_b32 v10, 0xffe, v12, v10
	v_med3_i32 v12, v14, 0, 13
	v_or_b32_e32 v14, 0x1000, v4
	v_med3_i32 v6, v6, 0, 13
	s_delay_alu instid0(VALU_DEP_4) | instskip(NEXT) | instid1(VALU_DEP_3)
	v_or_b32_e32 v15, 0x1000, v10
	v_lshrrev_b32_e32 v18, v12, v14
	s_delay_alu instid0(VALU_DEP_2) | instskip(NEXT) | instid1(VALU_DEP_2)
	v_lshrrev_b32_e32 v19, v6, v15
	v_lshlrev_b32_e32 v12, v12, v18
	s_delay_alu instid0(VALU_DEP_2) | instskip(NEXT) | instid1(VALU_DEP_2)
	v_lshlrev_b32_e32 v6, v6, v19
	v_cmp_ne_u32_e32 vcc_lo, v12, v14
	v_lshl_or_b32 v14, v8, 12, v4
	s_wait_alu 0xfffd
	v_cndmask_b32_e64 v12, 0, 1, vcc_lo
	v_cmp_ne_u32_e32 vcc_lo, v6, v15
	v_lshl_or_b32 v15, v13, 12, v10
	s_delay_alu instid0(VALU_DEP_3) | instskip(SKIP_3) | instid1(VALU_DEP_2)
	v_or_b32_e32 v12, v18, v12
	s_wait_alu 0xfffd
	v_cndmask_b32_e64 v6, 0, 1, vcc_lo
	v_cmp_gt_i32_e32 vcc_lo, 1, v8
	v_or_b32_e32 v6, v19, v6
	s_wait_alu 0xfffd
	v_cndmask_b32_e32 v12, v14, v12, vcc_lo
	v_cmp_gt_i32_e32 vcc_lo, 1, v13
	s_delay_alu instid0(VALU_DEP_2)
	v_and_b32_e32 v14, 7, v12
	s_wait_alu 0xfffd
	v_cndmask_b32_e32 v6, v15, v6, vcc_lo
	v_cmp_ne_u32_e32 vcc_lo, 0, v4
	v_lshrrev_b32_e32 v12, 2, v12
	v_cmp_eq_u32_e64 s0, 3, v14
	s_delay_alu instid0(VALU_DEP_4)
	v_and_b32_e32 v15, 7, v6
	s_wait_alu 0xfffd
	v_cndmask_b32_e64 v4, 0, 1, vcc_lo
	v_cmp_ne_u32_e32 vcc_lo, 0, v10
	v_lshrrev_b32_e32 v6, 2, v6
	v_cmp_lt_i32_e64 s1, 5, v15
	v_cmp_eq_u32_e64 s2, 3, v15
	s_wait_alu 0xfffd
	v_cndmask_b32_e64 v10, 0, 1, vcc_lo
	v_cmp_lt_i32_e32 vcc_lo, 5, v14
	v_lshl_or_b32 v4, v4, 9, 0x7c00
	s_delay_alu instid0(VALU_DEP_3)
	v_lshl_or_b32 v10, v10, 9, 0x7c00
	s_or_b32 vcc_lo, s0, vcc_lo
	s_wait_alu 0xfffe
	v_add_co_ci_u32_e32 v12, vcc_lo, 0, v12, vcc_lo
	s_or_b32 vcc_lo, s2, s1
	s_wait_alu 0xfffe
	v_add_co_ci_u32_e32 v6, vcc_lo, 0, v6, vcc_lo
	v_cmp_gt_i32_e32 vcc_lo, 31, v8
	s_wait_alu 0xfffd
	v_cndmask_b32_e32 v12, 0x7c00, v12, vcc_lo
	v_cmp_gt_i32_e32 vcc_lo, 31, v13
	s_wait_alu 0xfffd
	v_cndmask_b32_e32 v6, 0x7c00, v6, vcc_lo
	v_cmp_eq_u32_e32 vcc_lo, 0x40f, v8
	v_lshrrev_b32_e32 v8, 16, v11
	s_wait_alu 0xfffd
	v_cndmask_b32_e32 v4, v12, v4, vcc_lo
	v_cmp_eq_u32_e32 vcc_lo, 0x40f, v13
	s_delay_alu instid0(VALU_DEP_2)
	v_and_or_b32 v4, 0x8000, v9, v4
	s_wait_alu 0xfffd
	v_cndmask_b32_e32 v6, v6, v10, vcc_lo
	v_add_co_u32 v0, vcc_lo, v0, s6
	s_wait_alu 0xfffd
	v_add_co_ci_u32_e32 v1, vcc_lo, s7, v1, vcc_lo
	s_delay_alu instid0(VALU_DEP_3) | instskip(SKIP_1) | instid1(VALU_DEP_1)
	v_and_or_b32 v6, 0x8000, v8, v6
	v_and_b32_e32 v4, 0xffff, v4
	v_lshl_or_b32 v4, v6, 16, v4
	v_lshrrev_b32_e32 v6, 16, v7
	global_store_b32 v[0:1], v4, off
	global_load_b32 v4, v[16:17], off offset:4560
	s_wait_loadcnt 0x0
	v_lshrrev_b32_e32 v8, 16, v4
	s_delay_alu instid0(VALU_DEP_1) | instskip(SKIP_1) | instid1(VALU_DEP_2)
	v_mul_f16_e32 v9, v6, v8
	v_mul_f16_e32 v8, v7, v8
	v_fmac_f16_e32 v9, v7, v4
	s_delay_alu instid0(VALU_DEP_2) | instskip(NEXT) | instid1(VALU_DEP_2)
	v_fma_f16 v4, v4, v6, -v8
	v_cvt_f32_f16_e32 v6, v9
	s_delay_alu instid0(VALU_DEP_2) | instskip(NEXT) | instid1(VALU_DEP_2)
	v_cvt_f32_f16_e32 v4, v4
	v_cvt_f64_f32_e32 v[6:7], v6
	s_delay_alu instid0(VALU_DEP_2) | instskip(NEXT) | instid1(VALU_DEP_2)
	v_cvt_f64_f32_e32 v[8:9], v4
	v_mul_f64_e32 v[6:7], s[8:9], v[6:7]
	s_delay_alu instid0(VALU_DEP_2) | instskip(NEXT) | instid1(VALU_DEP_2)
	v_mul_f64_e32 v[8:9], s[8:9], v[8:9]
	v_and_or_b32 v4, 0x1ff, v7, v6
	s_delay_alu instid0(VALU_DEP_2)
	v_and_or_b32 v8, 0x1ff, v9, v8
	v_lshrrev_b32_e32 v6, 8, v7
	v_bfe_u32 v10, v7, 20, 11
	v_lshrrev_b32_e32 v11, 8, v9
	v_cmp_ne_u32_e32 vcc_lo, 0, v4
	v_bfe_u32 v12, v9, 20, 11
	v_lshrrev_b32_e32 v7, 16, v7
	v_sub_nc_u32_e32 v13, 0x3f1, v10
	v_add_nc_u32_e32 v10, 0xfffffc10, v10
	s_wait_alu 0xfffd
	v_cndmask_b32_e64 v4, 0, 1, vcc_lo
	v_cmp_ne_u32_e32 vcc_lo, 0, v8
	v_lshrrev_b32_e32 v9, 16, v9
	s_delay_alu instid0(VALU_DEP_3) | instskip(SKIP_4) | instid1(VALU_DEP_3)
	v_and_or_b32 v4, 0xffe, v6, v4
	s_wait_alu 0xfffd
	v_cndmask_b32_e64 v8, 0, 1, vcc_lo
	v_sub_nc_u32_e32 v6, 0x3f1, v12
	v_add_nc_u32_e32 v12, 0xfffffc10, v12
	v_and_or_b32 v8, 0xffe, v11, v8
	v_med3_i32 v11, v13, 0, 13
	v_or_b32_e32 v13, 0x1000, v4
	v_med3_i32 v6, v6, 0, 13
	s_delay_alu instid0(VALU_DEP_4) | instskip(NEXT) | instid1(VALU_DEP_3)
	v_or_b32_e32 v14, 0x1000, v8
	v_lshrrev_b32_e32 v15, v11, v13
	s_delay_alu instid0(VALU_DEP_2) | instskip(NEXT) | instid1(VALU_DEP_2)
	v_lshrrev_b32_e32 v18, v6, v14
	v_lshlrev_b32_e32 v11, v11, v15
	s_delay_alu instid0(VALU_DEP_2) | instskip(NEXT) | instid1(VALU_DEP_2)
	v_lshlrev_b32_e32 v6, v6, v18
	v_cmp_ne_u32_e32 vcc_lo, v11, v13
	v_lshl_or_b32 v13, v10, 12, v4
	s_wait_alu 0xfffd
	v_cndmask_b32_e64 v11, 0, 1, vcc_lo
	v_cmp_ne_u32_e32 vcc_lo, v6, v14
	v_lshl_or_b32 v14, v12, 12, v8
	s_delay_alu instid0(VALU_DEP_3) | instskip(SKIP_3) | instid1(VALU_DEP_2)
	v_or_b32_e32 v11, v15, v11
	s_wait_alu 0xfffd
	v_cndmask_b32_e64 v6, 0, 1, vcc_lo
	v_cmp_gt_i32_e32 vcc_lo, 1, v10
	v_or_b32_e32 v6, v18, v6
	s_wait_alu 0xfffd
	v_cndmask_b32_e32 v11, v13, v11, vcc_lo
	v_cmp_gt_i32_e32 vcc_lo, 1, v12
	s_wait_alu 0xfffd
	s_delay_alu instid0(VALU_DEP_2) | instskip(SKIP_2) | instid1(VALU_DEP_3)
	v_dual_cndmask_b32 v6, v14, v6 :: v_dual_and_b32 v13, 7, v11
	v_cmp_ne_u32_e32 vcc_lo, 0, v4
	v_lshrrev_b32_e32 v11, 2, v11
	v_cmp_eq_u32_e64 s0, 3, v13
	s_delay_alu instid0(VALU_DEP_4)
	v_and_b32_e32 v14, 7, v6
	s_wait_alu 0xfffd
	v_cndmask_b32_e64 v4, 0, 1, vcc_lo
	v_cmp_ne_u32_e32 vcc_lo, 0, v8
	v_lshrrev_b32_e32 v6, 2, v6
	v_cmp_lt_i32_e64 s1, 5, v14
	v_cmp_eq_u32_e64 s2, 3, v14
	s_wait_alu 0xfffd
	v_cndmask_b32_e64 v8, 0, 1, vcc_lo
	v_cmp_lt_i32_e32 vcc_lo, 5, v13
	v_lshl_or_b32 v4, v4, 9, 0x7c00
	s_delay_alu instid0(VALU_DEP_3)
	v_lshl_or_b32 v8, v8, 9, 0x7c00
	s_or_b32 vcc_lo, s0, vcc_lo
	s_wait_alu 0xfffe
	v_add_co_ci_u32_e32 v11, vcc_lo, 0, v11, vcc_lo
	s_or_b32 vcc_lo, s2, s1
	s_wait_alu 0xfffe
	v_add_co_ci_u32_e32 v6, vcc_lo, 0, v6, vcc_lo
	v_cmp_gt_i32_e32 vcc_lo, 31, v10
	s_wait_alu 0xfffd
	v_cndmask_b32_e32 v11, 0x7c00, v11, vcc_lo
	v_cmp_gt_i32_e32 vcc_lo, 31, v12
	s_wait_alu 0xfffd
	v_cndmask_b32_e32 v6, 0x7c00, v6, vcc_lo
	v_cmp_eq_u32_e32 vcc_lo, 0x40f, v10
	s_wait_alu 0xfffd
	v_cndmask_b32_e32 v4, v11, v4, vcc_lo
	v_cmp_eq_u32_e32 vcc_lo, 0x40f, v12
	s_delay_alu instid0(VALU_DEP_2)
	v_and_or_b32 v4, 0x8000, v7, v4
	s_wait_alu 0xfffd
	v_cndmask_b32_e32 v6, v6, v8, vcc_lo
	v_add_co_u32 v0, vcc_lo, v0, s6
	s_wait_alu 0xfffd
	v_add_co_ci_u32_e32 v1, vcc_lo, s7, v1, vcc_lo
	s_delay_alu instid0(VALU_DEP_3) | instskip(SKIP_1) | instid1(VALU_DEP_1)
	v_and_or_b32 v6, 0x8000, v9, v6
	v_and_b32_e32 v4, 0xffff, v4
	v_lshl_or_b32 v4, v6, 16, v4
	global_store_b32 v[0:1], v4, off
	global_load_b32 v6, v[16:17], off offset:4956
	ds_load_2addr_b32 v[4:5], v5 offset0:87 offset1:186
	s_wait_dscnt 0x0
	v_lshrrev_b32_e32 v7, 16, v4
	s_wait_loadcnt 0x0
	v_lshrrev_b32_e32 v8, 16, v6
	s_delay_alu instid0(VALU_DEP_1) | instskip(SKIP_1) | instid1(VALU_DEP_2)
	v_mul_f16_e32 v9, v7, v8
	v_mul_f16_e32 v8, v4, v8
	v_fmac_f16_e32 v9, v4, v6
	s_delay_alu instid0(VALU_DEP_2) | instskip(NEXT) | instid1(VALU_DEP_2)
	v_fma_f16 v4, v6, v7, -v8
	v_cvt_f32_f16_e32 v6, v9
	s_delay_alu instid0(VALU_DEP_2) | instskip(NEXT) | instid1(VALU_DEP_2)
	v_cvt_f32_f16_e32 v4, v4
	v_cvt_f64_f32_e32 v[6:7], v6
	s_delay_alu instid0(VALU_DEP_2) | instskip(NEXT) | instid1(VALU_DEP_2)
	v_cvt_f64_f32_e32 v[8:9], v4
	v_mul_f64_e32 v[6:7], s[8:9], v[6:7]
	s_delay_alu instid0(VALU_DEP_2) | instskip(NEXT) | instid1(VALU_DEP_2)
	v_mul_f64_e32 v[8:9], s[8:9], v[8:9]
	v_and_or_b32 v4, 0x1ff, v7, v6
	s_delay_alu instid0(VALU_DEP_2)
	v_and_or_b32 v8, 0x1ff, v9, v8
	v_lshrrev_b32_e32 v6, 8, v7
	v_bfe_u32 v10, v7, 20, 11
	v_lshrrev_b32_e32 v11, 8, v9
	v_cmp_ne_u32_e32 vcc_lo, 0, v4
	v_bfe_u32 v12, v9, 20, 11
	v_lshrrev_b32_e32 v7, 16, v7
	v_sub_nc_u32_e32 v13, 0x3f1, v10
	v_add_nc_u32_e32 v10, 0xfffffc10, v10
	s_wait_alu 0xfffd
	v_cndmask_b32_e64 v4, 0, 1, vcc_lo
	v_cmp_ne_u32_e32 vcc_lo, 0, v8
	v_lshrrev_b32_e32 v9, 16, v9
	s_delay_alu instid0(VALU_DEP_3) | instskip(SKIP_4) | instid1(VALU_DEP_3)
	v_and_or_b32 v4, 0xffe, v6, v4
	s_wait_alu 0xfffd
	v_cndmask_b32_e64 v8, 0, 1, vcc_lo
	v_sub_nc_u32_e32 v6, 0x3f1, v12
	v_add_nc_u32_e32 v12, 0xfffffc10, v12
	v_and_or_b32 v8, 0xffe, v11, v8
	v_med3_i32 v11, v13, 0, 13
	v_or_b32_e32 v13, 0x1000, v4
	v_med3_i32 v6, v6, 0, 13
	s_delay_alu instid0(VALU_DEP_4) | instskip(NEXT) | instid1(VALU_DEP_3)
	v_or_b32_e32 v14, 0x1000, v8
	v_lshrrev_b32_e32 v15, v11, v13
	s_delay_alu instid0(VALU_DEP_2) | instskip(NEXT) | instid1(VALU_DEP_2)
	v_lshrrev_b32_e32 v18, v6, v14
	v_lshlrev_b32_e32 v11, v11, v15
	s_delay_alu instid0(VALU_DEP_2) | instskip(NEXT) | instid1(VALU_DEP_2)
	v_lshlrev_b32_e32 v6, v6, v18
	v_cmp_ne_u32_e32 vcc_lo, v11, v13
	v_lshl_or_b32 v13, v10, 12, v4
	s_wait_alu 0xfffd
	v_cndmask_b32_e64 v11, 0, 1, vcc_lo
	v_cmp_ne_u32_e32 vcc_lo, v6, v14
	v_lshl_or_b32 v14, v12, 12, v8
	s_delay_alu instid0(VALU_DEP_3) | instskip(SKIP_3) | instid1(VALU_DEP_2)
	v_or_b32_e32 v11, v15, v11
	s_wait_alu 0xfffd
	v_cndmask_b32_e64 v6, 0, 1, vcc_lo
	v_cmp_gt_i32_e32 vcc_lo, 1, v10
	v_or_b32_e32 v6, v18, v6
	s_wait_alu 0xfffd
	v_cndmask_b32_e32 v11, v13, v11, vcc_lo
	v_cmp_gt_i32_e32 vcc_lo, 1, v12
	s_wait_alu 0xfffd
	s_delay_alu instid0(VALU_DEP_2) | instskip(SKIP_2) | instid1(VALU_DEP_3)
	v_dual_cndmask_b32 v6, v14, v6 :: v_dual_and_b32 v13, 7, v11
	v_cmp_ne_u32_e32 vcc_lo, 0, v4
	v_lshrrev_b32_e32 v11, 2, v11
	v_cmp_eq_u32_e64 s0, 3, v13
	s_delay_alu instid0(VALU_DEP_4)
	v_and_b32_e32 v14, 7, v6
	s_wait_alu 0xfffd
	v_cndmask_b32_e64 v4, 0, 1, vcc_lo
	v_cmp_ne_u32_e32 vcc_lo, 0, v8
	v_lshrrev_b32_e32 v6, 2, v6
	v_cmp_lt_i32_e64 s1, 5, v14
	v_cmp_eq_u32_e64 s2, 3, v14
	s_wait_alu 0xfffd
	v_cndmask_b32_e64 v8, 0, 1, vcc_lo
	v_cmp_lt_i32_e32 vcc_lo, 5, v13
	v_lshl_or_b32 v4, v4, 9, 0x7c00
	s_delay_alu instid0(VALU_DEP_3)
	v_lshl_or_b32 v8, v8, 9, 0x7c00
	s_or_b32 vcc_lo, s0, vcc_lo
	s_wait_alu 0xfffe
	v_add_co_ci_u32_e32 v11, vcc_lo, 0, v11, vcc_lo
	s_or_b32 vcc_lo, s2, s1
	s_wait_alu 0xfffe
	v_add_co_ci_u32_e32 v6, vcc_lo, 0, v6, vcc_lo
	v_cmp_gt_i32_e32 vcc_lo, 31, v10
	s_wait_alu 0xfffd
	v_cndmask_b32_e32 v11, 0x7c00, v11, vcc_lo
	v_cmp_gt_i32_e32 vcc_lo, 31, v12
	s_wait_alu 0xfffd
	v_cndmask_b32_e32 v6, 0x7c00, v6, vcc_lo
	v_cmp_eq_u32_e32 vcc_lo, 0x40f, v10
	s_wait_alu 0xfffd
	v_cndmask_b32_e32 v4, v11, v4, vcc_lo
	v_cmp_eq_u32_e32 vcc_lo, 0x40f, v12
	s_delay_alu instid0(VALU_DEP_2)
	v_and_or_b32 v4, 0x8000, v7, v4
	s_wait_alu 0xfffd
	v_cndmask_b32_e32 v6, v6, v8, vcc_lo
	v_add_co_u32 v0, vcc_lo, v0, s6
	s_wait_alu 0xfffd
	v_add_co_ci_u32_e32 v1, vcc_lo, s7, v1, vcc_lo
	s_delay_alu instid0(VALU_DEP_3) | instskip(SKIP_1) | instid1(VALU_DEP_1)
	v_and_or_b32 v6, 0x8000, v9, v6
	v_and_b32_e32 v4, 0xffff, v4
	v_lshl_or_b32 v4, v6, 16, v4
	v_lshrrev_b32_e32 v6, 16, v5
	global_store_b32 v[0:1], v4, off
	global_load_b32 v4, v[16:17], off offset:5352
	s_wait_loadcnt 0x0
	v_lshrrev_b32_e32 v7, 16, v4
	s_delay_alu instid0(VALU_DEP_1) | instskip(SKIP_1) | instid1(VALU_DEP_2)
	v_mul_f16_e32 v8, v6, v7
	v_mul_f16_e32 v7, v5, v7
	v_fmac_f16_e32 v8, v5, v4
	s_delay_alu instid0(VALU_DEP_2) | instskip(NEXT) | instid1(VALU_DEP_2)
	v_fma_f16 v4, v4, v6, -v7
	v_cvt_f32_f16_e32 v5, v8
	s_delay_alu instid0(VALU_DEP_2) | instskip(NEXT) | instid1(VALU_DEP_2)
	v_cvt_f32_f16_e32 v6, v4
	v_cvt_f64_f32_e32 v[4:5], v5
	s_delay_alu instid0(VALU_DEP_2) | instskip(NEXT) | instid1(VALU_DEP_2)
	v_cvt_f64_f32_e32 v[6:7], v6
	v_mul_f64_e32 v[4:5], s[8:9], v[4:5]
	s_delay_alu instid0(VALU_DEP_2) | instskip(NEXT) | instid1(VALU_DEP_2)
	v_mul_f64_e32 v[6:7], s[8:9], v[6:7]
	v_and_or_b32 v4, 0x1ff, v5, v4
	s_delay_alu instid0(VALU_DEP_2)
	v_and_or_b32 v6, 0x1ff, v7, v6
	v_lshrrev_b32_e32 v8, 8, v5
	v_bfe_u32 v9, v5, 20, 11
	v_lshrrev_b32_e32 v10, 8, v7
	v_cmp_ne_u32_e32 vcc_lo, 0, v4
	v_bfe_u32 v11, v7, 20, 11
	v_lshrrev_b32_e32 v5, 16, v5
	v_sub_nc_u32_e32 v12, 0x3f1, v9
	v_add_nc_u32_e32 v9, 0xfffffc10, v9
	s_wait_alu 0xfffd
	v_cndmask_b32_e64 v4, 0, 1, vcc_lo
	v_cmp_ne_u32_e32 vcc_lo, 0, v6
	v_lshrrev_b32_e32 v7, 16, v7
	s_delay_alu instid0(VALU_DEP_3) | instskip(SKIP_4) | instid1(VALU_DEP_3)
	v_and_or_b32 v4, 0xffe, v8, v4
	s_wait_alu 0xfffd
	v_cndmask_b32_e64 v6, 0, 1, vcc_lo
	v_sub_nc_u32_e32 v8, 0x3f1, v11
	v_add_nc_u32_e32 v11, 0xfffffc10, v11
	v_and_or_b32 v6, 0xffe, v10, v6
	v_med3_i32 v10, v12, 0, 13
	v_or_b32_e32 v12, 0x1000, v4
	v_med3_i32 v8, v8, 0, 13
	s_delay_alu instid0(VALU_DEP_4) | instskip(NEXT) | instid1(VALU_DEP_3)
	v_or_b32_e32 v13, 0x1000, v6
	v_lshrrev_b32_e32 v14, v10, v12
	s_delay_alu instid0(VALU_DEP_2) | instskip(NEXT) | instid1(VALU_DEP_2)
	v_lshrrev_b32_e32 v15, v8, v13
	v_lshlrev_b32_e32 v10, v10, v14
	s_delay_alu instid0(VALU_DEP_2) | instskip(NEXT) | instid1(VALU_DEP_2)
	v_lshlrev_b32_e32 v8, v8, v15
	v_cmp_ne_u32_e32 vcc_lo, v10, v12
	v_lshl_or_b32 v12, v9, 12, v4
	s_wait_alu 0xfffd
	v_cndmask_b32_e64 v10, 0, 1, vcc_lo
	v_cmp_ne_u32_e32 vcc_lo, v8, v13
	v_lshl_or_b32 v13, v11, 12, v6
	s_delay_alu instid0(VALU_DEP_3) | instskip(SKIP_3) | instid1(VALU_DEP_2)
	v_or_b32_e32 v10, v14, v10
	s_wait_alu 0xfffd
	v_cndmask_b32_e64 v8, 0, 1, vcc_lo
	v_cmp_gt_i32_e32 vcc_lo, 1, v9
	v_or_b32_e32 v8, v15, v8
	s_wait_alu 0xfffd
	v_cndmask_b32_e32 v10, v12, v10, vcc_lo
	v_cmp_gt_i32_e32 vcc_lo, 1, v11
	s_delay_alu instid0(VALU_DEP_2)
	v_and_b32_e32 v12, 7, v10
	s_wait_alu 0xfffd
	v_cndmask_b32_e32 v8, v13, v8, vcc_lo
	v_cmp_ne_u32_e32 vcc_lo, 0, v4
	v_lshrrev_b32_e32 v10, 2, v10
	v_cmp_eq_u32_e64 s0, 3, v12
	s_delay_alu instid0(VALU_DEP_4)
	v_and_b32_e32 v13, 7, v8
	s_wait_alu 0xfffd
	v_cndmask_b32_e64 v4, 0, 1, vcc_lo
	v_cmp_ne_u32_e32 vcc_lo, 0, v6
	v_lshrrev_b32_e32 v8, 2, v8
	v_cmp_lt_i32_e64 s1, 5, v13
	v_cmp_eq_u32_e64 s2, 3, v13
	s_wait_alu 0xfffd
	v_cndmask_b32_e64 v6, 0, 1, vcc_lo
	v_cmp_lt_i32_e32 vcc_lo, 5, v12
	v_lshl_or_b32 v4, v4, 9, 0x7c00
	s_delay_alu instid0(VALU_DEP_3)
	v_lshl_or_b32 v6, v6, 9, 0x7c00
	s_or_b32 vcc_lo, s0, vcc_lo
	s_wait_alu 0xfffe
	v_add_co_ci_u32_e32 v10, vcc_lo, 0, v10, vcc_lo
	s_or_b32 vcc_lo, s2, s1
	s_wait_alu 0xfffe
	v_add_co_ci_u32_e32 v8, vcc_lo, 0, v8, vcc_lo
	v_cmp_gt_i32_e32 vcc_lo, 31, v9
	s_wait_alu 0xfffd
	v_cndmask_b32_e32 v10, 0x7c00, v10, vcc_lo
	v_cmp_gt_i32_e32 vcc_lo, 31, v11
	s_wait_alu 0xfffd
	v_cndmask_b32_e32 v8, 0x7c00, v8, vcc_lo
	v_cmp_eq_u32_e32 vcc_lo, 0x40f, v9
	s_wait_alu 0xfffd
	v_cndmask_b32_e32 v4, v10, v4, vcc_lo
	v_cmp_eq_u32_e32 vcc_lo, 0x40f, v11
	s_delay_alu instid0(VALU_DEP_2)
	v_and_or_b32 v4, 0x8000, v5, v4
	s_wait_alu 0xfffd
	v_cndmask_b32_e32 v6, v8, v6, vcc_lo
	v_add_co_u32 v0, vcc_lo, v0, s6
	s_wait_alu 0xfffd
	v_add_co_ci_u32_e32 v1, vcc_lo, s7, v1, vcc_lo
	s_delay_alu instid0(VALU_DEP_3) | instskip(SKIP_1) | instid1(VALU_DEP_1)
	v_and_or_b32 v5, 0x8000, v7, v6
	v_and_b32_e32 v4, 0xffff, v4
	v_lshl_or_b32 v4, v5, 16, v4
	global_store_b32 v[0:1], v4, off
	global_load_b32 v6, v[16:17], off offset:5748
	ds_load_2addr_b32 v[4:5], v79 offset0:29 offset1:128
	s_wait_dscnt 0x0
	v_lshrrev_b32_e32 v7, 16, v4
	s_wait_loadcnt 0x0
	v_lshrrev_b32_e32 v8, 16, v6
	s_delay_alu instid0(VALU_DEP_1) | instskip(SKIP_1) | instid1(VALU_DEP_2)
	v_mul_f16_e32 v9, v7, v8
	v_mul_f16_e32 v8, v4, v8
	v_fmac_f16_e32 v9, v4, v6
	s_delay_alu instid0(VALU_DEP_2) | instskip(NEXT) | instid1(VALU_DEP_2)
	v_fma_f16 v4, v6, v7, -v8
	v_cvt_f32_f16_e32 v6, v9
	s_delay_alu instid0(VALU_DEP_2) | instskip(NEXT) | instid1(VALU_DEP_2)
	v_cvt_f32_f16_e32 v4, v4
	v_cvt_f64_f32_e32 v[6:7], v6
	s_delay_alu instid0(VALU_DEP_2) | instskip(NEXT) | instid1(VALU_DEP_2)
	v_cvt_f64_f32_e32 v[8:9], v4
	v_mul_f64_e32 v[6:7], s[8:9], v[6:7]
	s_delay_alu instid0(VALU_DEP_2) | instskip(NEXT) | instid1(VALU_DEP_2)
	v_mul_f64_e32 v[8:9], s[8:9], v[8:9]
	v_and_or_b32 v4, 0x1ff, v7, v6
	s_delay_alu instid0(VALU_DEP_2)
	v_and_or_b32 v8, 0x1ff, v9, v8
	v_lshrrev_b32_e32 v6, 8, v7
	v_bfe_u32 v10, v7, 20, 11
	v_lshrrev_b32_e32 v11, 8, v9
	v_cmp_ne_u32_e32 vcc_lo, 0, v4
	v_bfe_u32 v12, v9, 20, 11
	v_lshrrev_b32_e32 v7, 16, v7
	v_sub_nc_u32_e32 v13, 0x3f1, v10
	v_add_nc_u32_e32 v10, 0xfffffc10, v10
	s_wait_alu 0xfffd
	v_cndmask_b32_e64 v4, 0, 1, vcc_lo
	v_cmp_ne_u32_e32 vcc_lo, 0, v8
	v_lshrrev_b32_e32 v9, 16, v9
	s_delay_alu instid0(VALU_DEP_3) | instskip(SKIP_4) | instid1(VALU_DEP_3)
	v_and_or_b32 v4, 0xffe, v6, v4
	s_wait_alu 0xfffd
	v_cndmask_b32_e64 v8, 0, 1, vcc_lo
	v_sub_nc_u32_e32 v6, 0x3f1, v12
	v_add_nc_u32_e32 v12, 0xfffffc10, v12
	v_and_or_b32 v8, 0xffe, v11, v8
	v_med3_i32 v11, v13, 0, 13
	v_or_b32_e32 v13, 0x1000, v4
	v_med3_i32 v6, v6, 0, 13
	s_delay_alu instid0(VALU_DEP_4) | instskip(NEXT) | instid1(VALU_DEP_3)
	v_or_b32_e32 v14, 0x1000, v8
	v_lshrrev_b32_e32 v15, v11, v13
	s_delay_alu instid0(VALU_DEP_2) | instskip(NEXT) | instid1(VALU_DEP_2)
	v_lshrrev_b32_e32 v18, v6, v14
	v_lshlrev_b32_e32 v11, v11, v15
	s_delay_alu instid0(VALU_DEP_2) | instskip(NEXT) | instid1(VALU_DEP_2)
	v_lshlrev_b32_e32 v6, v6, v18
	v_cmp_ne_u32_e32 vcc_lo, v11, v13
	v_lshl_or_b32 v13, v10, 12, v4
	s_wait_alu 0xfffd
	v_cndmask_b32_e64 v11, 0, 1, vcc_lo
	v_cmp_ne_u32_e32 vcc_lo, v6, v14
	v_lshl_or_b32 v14, v12, 12, v8
	s_delay_alu instid0(VALU_DEP_3) | instskip(SKIP_3) | instid1(VALU_DEP_2)
	v_or_b32_e32 v11, v15, v11
	s_wait_alu 0xfffd
	v_cndmask_b32_e64 v6, 0, 1, vcc_lo
	v_cmp_gt_i32_e32 vcc_lo, 1, v10
	v_or_b32_e32 v6, v18, v6
	s_wait_alu 0xfffd
	v_cndmask_b32_e32 v11, v13, v11, vcc_lo
	v_cmp_gt_i32_e32 vcc_lo, 1, v12
	s_wait_alu 0xfffd
	s_delay_alu instid0(VALU_DEP_2) | instskip(SKIP_2) | instid1(VALU_DEP_3)
	v_dual_cndmask_b32 v6, v14, v6 :: v_dual_and_b32 v13, 7, v11
	v_cmp_ne_u32_e32 vcc_lo, 0, v4
	v_lshrrev_b32_e32 v11, 2, v11
	v_cmp_eq_u32_e64 s0, 3, v13
	s_delay_alu instid0(VALU_DEP_4)
	v_and_b32_e32 v14, 7, v6
	s_wait_alu 0xfffd
	v_cndmask_b32_e64 v4, 0, 1, vcc_lo
	v_cmp_ne_u32_e32 vcc_lo, 0, v8
	v_lshrrev_b32_e32 v6, 2, v6
	v_cmp_lt_i32_e64 s1, 5, v14
	v_cmp_eq_u32_e64 s2, 3, v14
	s_wait_alu 0xfffd
	v_cndmask_b32_e64 v8, 0, 1, vcc_lo
	v_cmp_lt_i32_e32 vcc_lo, 5, v13
	v_lshl_or_b32 v4, v4, 9, 0x7c00
	s_delay_alu instid0(VALU_DEP_3)
	v_lshl_or_b32 v8, v8, 9, 0x7c00
	s_or_b32 vcc_lo, s0, vcc_lo
	s_wait_alu 0xfffe
	v_add_co_ci_u32_e32 v11, vcc_lo, 0, v11, vcc_lo
	s_or_b32 vcc_lo, s2, s1
	s_wait_alu 0xfffe
	v_add_co_ci_u32_e32 v6, vcc_lo, 0, v6, vcc_lo
	v_cmp_gt_i32_e32 vcc_lo, 31, v10
	s_wait_alu 0xfffd
	v_cndmask_b32_e32 v11, 0x7c00, v11, vcc_lo
	v_cmp_gt_i32_e32 vcc_lo, 31, v12
	s_wait_alu 0xfffd
	v_cndmask_b32_e32 v6, 0x7c00, v6, vcc_lo
	v_cmp_eq_u32_e32 vcc_lo, 0x40f, v10
	s_wait_alu 0xfffd
	v_cndmask_b32_e32 v4, v11, v4, vcc_lo
	v_cmp_eq_u32_e32 vcc_lo, 0x40f, v12
	s_delay_alu instid0(VALU_DEP_2)
	v_and_or_b32 v4, 0x8000, v7, v4
	s_wait_alu 0xfffd
	v_cndmask_b32_e32 v6, v6, v8, vcc_lo
	v_add_co_u32 v0, vcc_lo, v0, s6
	s_wait_alu 0xfffd
	v_add_co_ci_u32_e32 v1, vcc_lo, s7, v1, vcc_lo
	s_delay_alu instid0(VALU_DEP_3) | instskip(SKIP_1) | instid1(VALU_DEP_1)
	v_and_or_b32 v6, 0x8000, v9, v6
	v_and_b32_e32 v4, 0xffff, v4
	v_lshl_or_b32 v4, v6, 16, v4
	v_lshrrev_b32_e32 v6, 16, v5
	global_store_b32 v[0:1], v4, off
	global_load_b32 v4, v[16:17], off offset:6144
	v_mad_co_u64_u32 v[0:1], null, 0x318, s4, v[0:1]
	s_wait_loadcnt 0x0
	v_lshrrev_b32_e32 v7, 16, v4
	s_delay_alu instid0(VALU_DEP_1) | instskip(SKIP_1) | instid1(VALU_DEP_2)
	v_mul_f16_e32 v8, v6, v7
	v_mul_f16_e32 v7, v5, v7
	v_fmac_f16_e32 v8, v5, v4
	s_delay_alu instid0(VALU_DEP_2) | instskip(NEXT) | instid1(VALU_DEP_2)
	v_fma_f16 v4, v4, v6, -v7
	v_cvt_f32_f16_e32 v5, v8
	s_delay_alu instid0(VALU_DEP_2) | instskip(NEXT) | instid1(VALU_DEP_2)
	v_cvt_f32_f16_e32 v6, v4
	v_cvt_f64_f32_e32 v[4:5], v5
	s_delay_alu instid0(VALU_DEP_2) | instskip(NEXT) | instid1(VALU_DEP_2)
	v_cvt_f64_f32_e32 v[6:7], v6
	v_mul_f64_e32 v[4:5], s[8:9], v[4:5]
	s_delay_alu instid0(VALU_DEP_2) | instskip(NEXT) | instid1(VALU_DEP_2)
	v_mul_f64_e32 v[6:7], s[8:9], v[6:7]
	v_and_or_b32 v4, 0x1ff, v5, v4
	s_delay_alu instid0(VALU_DEP_2)
	v_and_or_b32 v6, 0x1ff, v7, v6
	v_lshrrev_b32_e32 v8, 8, v5
	v_bfe_u32 v10, v5, 20, 11
	v_bfe_u32 v11, v7, 20, 11
	v_cmp_ne_u32_e32 vcc_lo, 0, v4
	v_lshrrev_b32_e32 v9, 8, v7
	v_lshrrev_b32_e32 v7, 16, v7
	v_sub_nc_u32_e32 v12, 0x3f1, v10
	v_sub_nc_u32_e32 v13, 0x3f1, v11
	s_wait_alu 0xfffd
	v_cndmask_b32_e64 v4, 0, 1, vcc_lo
	v_cmp_ne_u32_e32 vcc_lo, 0, v6
	v_add_nc_u32_e32 v11, 0xfffffc10, v11
	s_delay_alu instid0(VALU_DEP_3)
	v_and_or_b32 v14, 0xffe, v8, v4
	s_wait_alu 0xfffd
	v_cndmask_b32_e64 v6, 0, 1, vcc_lo
	v_med3_i32 v4, v12, 0, 13
	v_med3_i32 v12, v13, 0, 13
	v_or_b32_e32 v13, 0x1000, v14
	s_delay_alu instid0(VALU_DEP_4) | instskip(SKIP_1) | instid1(VALU_DEP_3)
	v_and_or_b32 v6, 0xffe, v9, v6
	v_mad_co_u64_u32 v[8:9], null, s4, v21, 0
	v_lshrrev_b32_e32 v18, v4, v13
	s_delay_alu instid0(VALU_DEP_3) | instskip(NEXT) | instid1(VALU_DEP_2)
	v_or_b32_e32 v15, 0x1000, v6
	v_lshlrev_b32_e32 v20, v4, v18
	s_delay_alu instid0(VALU_DEP_2) | instskip(SKIP_1) | instid1(VALU_DEP_3)
	v_lshrrev_b32_e32 v19, v12, v15
	v_mov_b32_e32 v4, v9
	v_cmp_ne_u32_e32 vcc_lo, v20, v13
	s_delay_alu instid0(VALU_DEP_3) | instskip(SKIP_3) | instid1(VALU_DEP_3)
	v_lshlrev_b32_e32 v9, v12, v19
	v_add_nc_u32_e32 v12, 0xfffffc10, v10
	s_wait_alu 0xfffd
	v_cndmask_b32_e64 v13, 0, 1, vcc_lo
	v_cmp_ne_u32_e32 vcc_lo, v9, v15
	v_mad_co_u64_u32 v[9:10], null, s5, v21, v[4:5]
	v_lshl_or_b32 v4, v12, 12, v14
	s_delay_alu instid0(VALU_DEP_4)
	v_or_b32_e32 v10, v18, v13
	s_wait_alu 0xfffd
	v_cndmask_b32_e64 v15, 0, 1, vcc_lo
	v_cmp_gt_i32_e32 vcc_lo, 1, v12
	v_lshl_or_b32 v13, v11, 12, v6
	v_lshrrev_b32_e32 v5, 16, v5
	s_delay_alu instid0(VALU_DEP_4)
	v_or_b32_e32 v15, v19, v15
	s_wait_alu 0xfffd
	v_cndmask_b32_e32 v4, v4, v10, vcc_lo
	v_cmp_gt_i32_e32 vcc_lo, 1, v11
	s_wait_alu 0xfffd
	v_cndmask_b32_e32 v10, v13, v15, vcc_lo
	v_cmp_ne_u32_e32 vcc_lo, 0, v14
	v_and_b32_e32 v14, 7, v4
	v_lshrrev_b32_e32 v4, 2, v4
	s_delay_alu instid0(VALU_DEP_4)
	v_and_b32_e32 v15, 7, v10
	s_wait_alu 0xfffd
	v_cndmask_b32_e64 v13, 0, 1, vcc_lo
	v_cmp_ne_u32_e32 vcc_lo, 0, v6
	v_cmp_eq_u32_e64 s0, 3, v14
	v_lshrrev_b32_e32 v10, 2, v10
	v_cmp_lt_i32_e64 s1, 5, v15
	v_cmp_eq_u32_e64 s2, 3, v15
	s_wait_alu 0xfffd
	v_cndmask_b32_e64 v6, 0, 1, vcc_lo
	v_cmp_lt_i32_e32 vcc_lo, 5, v14
	v_lshl_or_b32 v13, v13, 9, 0x7c00
	s_delay_alu instid0(VALU_DEP_3)
	v_lshl_or_b32 v6, v6, 9, 0x7c00
	s_or_b32 vcc_lo, s0, vcc_lo
	s_wait_alu 0xfffe
	v_add_co_ci_u32_e32 v4, vcc_lo, 0, v4, vcc_lo
	s_or_b32 vcc_lo, s2, s1
	s_wait_alu 0xfffe
	v_add_co_ci_u32_e32 v10, vcc_lo, 0, v10, vcc_lo
	v_cmp_gt_i32_e32 vcc_lo, 31, v12
	s_wait_alu 0xfffd
	v_cndmask_b32_e32 v4, 0x7c00, v4, vcc_lo
	v_cmp_gt_i32_e32 vcc_lo, 31, v11
	s_wait_alu 0xfffd
	v_cndmask_b32_e32 v10, 0x7c00, v10, vcc_lo
	v_cmp_eq_u32_e32 vcc_lo, 0x40f, v12
	s_wait_alu 0xfffd
	v_cndmask_b32_e32 v4, v4, v13, vcc_lo
	v_cmp_eq_u32_e32 vcc_lo, 0x40f, v11
	s_wait_alu 0xfffd
	v_cndmask_b32_e32 v6, v10, v6, vcc_lo
	s_delay_alu instid0(VALU_DEP_3) | instskip(SKIP_1) | instid1(VALU_DEP_3)
	v_and_or_b32 v10, 0x8000, v5, v4
	v_lshlrev_b64_e32 v[4:5], 2, v[8:9]
	v_and_or_b32 v6, 0x8000, v7, v6
	s_delay_alu instid0(VALU_DEP_3) | instskip(NEXT) | instid1(VALU_DEP_3)
	v_and_b32_e32 v7, 0xffff, v10
	v_add_co_u32 v2, vcc_lo, v2, v4
	s_wait_alu 0xfffd
	s_delay_alu instid0(VALU_DEP_4) | instskip(NEXT) | instid1(VALU_DEP_3)
	v_add_co_ci_u32_e32 v3, vcc_lo, v3, v5, vcc_lo
	v_lshl_or_b32 v4, v6, 16, v7
	global_store_b32 v[2:3], v4, off
	global_load_b32 v2, v[16:17], off offset:6540
	ds_load_b32 v3, v102 offset:6540
	s_wait_dscnt 0x0
	v_lshrrev_b32_e32 v4, 16, v3
	s_wait_loadcnt 0x0
	v_lshrrev_b32_e32 v5, 16, v2
	s_delay_alu instid0(VALU_DEP_1) | instskip(SKIP_1) | instid1(VALU_DEP_2)
	v_mul_f16_e32 v6, v4, v5
	v_mul_f16_e32 v5, v3, v5
	v_fmac_f16_e32 v6, v3, v2
	s_delay_alu instid0(VALU_DEP_2) | instskip(NEXT) | instid1(VALU_DEP_2)
	v_fma_f16 v2, v2, v4, -v5
	v_cvt_f32_f16_e32 v3, v6
	s_delay_alu instid0(VALU_DEP_2) | instskip(NEXT) | instid1(VALU_DEP_2)
	v_cvt_f32_f16_e32 v4, v2
	v_cvt_f64_f32_e32 v[2:3], v3
	s_delay_alu instid0(VALU_DEP_2) | instskip(NEXT) | instid1(VALU_DEP_2)
	v_cvt_f64_f32_e32 v[4:5], v4
	v_mul_f64_e32 v[2:3], s[8:9], v[2:3]
	s_delay_alu instid0(VALU_DEP_2) | instskip(NEXT) | instid1(VALU_DEP_2)
	v_mul_f64_e32 v[4:5], s[8:9], v[4:5]
	v_and_or_b32 v2, 0x1ff, v3, v2
	s_delay_alu instid0(VALU_DEP_2)
	v_and_or_b32 v4, 0x1ff, v5, v4
	v_lshrrev_b32_e32 v6, 8, v3
	v_bfe_u32 v7, v3, 20, 11
	v_lshrrev_b32_e32 v8, 8, v5
	v_cmp_ne_u32_e32 vcc_lo, 0, v2
	v_bfe_u32 v9, v5, 20, 11
	v_lshrrev_b32_e32 v3, 16, v3
	v_sub_nc_u32_e32 v10, 0x3f1, v7
	v_add_nc_u32_e32 v7, 0xfffffc10, v7
	s_wait_alu 0xfffd
	v_cndmask_b32_e64 v2, 0, 1, vcc_lo
	v_cmp_ne_u32_e32 vcc_lo, 0, v4
	v_lshrrev_b32_e32 v5, 16, v5
	s_delay_alu instid0(VALU_DEP_3) | instskip(SKIP_4) | instid1(VALU_DEP_3)
	v_and_or_b32 v2, 0xffe, v6, v2
	s_wait_alu 0xfffd
	v_cndmask_b32_e64 v4, 0, 1, vcc_lo
	v_sub_nc_u32_e32 v6, 0x3f1, v9
	v_add_nc_u32_e32 v9, 0xfffffc10, v9
	v_and_or_b32 v4, 0xffe, v8, v4
	v_med3_i32 v8, v10, 0, 13
	v_or_b32_e32 v10, 0x1000, v2
	v_med3_i32 v6, v6, 0, 13
	s_delay_alu instid0(VALU_DEP_4) | instskip(NEXT) | instid1(VALU_DEP_3)
	v_or_b32_e32 v11, 0x1000, v4
	v_lshrrev_b32_e32 v12, v8, v10
	s_delay_alu instid0(VALU_DEP_2) | instskip(NEXT) | instid1(VALU_DEP_2)
	v_lshrrev_b32_e32 v13, v6, v11
	v_lshlrev_b32_e32 v8, v8, v12
	s_delay_alu instid0(VALU_DEP_2) | instskip(NEXT) | instid1(VALU_DEP_2)
	v_lshlrev_b32_e32 v6, v6, v13
	v_cmp_ne_u32_e32 vcc_lo, v8, v10
	v_lshl_or_b32 v10, v7, 12, v2
	s_wait_alu 0xfffd
	v_cndmask_b32_e64 v8, 0, 1, vcc_lo
	v_cmp_ne_u32_e32 vcc_lo, v6, v11
	v_lshl_or_b32 v11, v9, 12, v4
	s_delay_alu instid0(VALU_DEP_3) | instskip(SKIP_3) | instid1(VALU_DEP_2)
	v_or_b32_e32 v8, v12, v8
	s_wait_alu 0xfffd
	v_cndmask_b32_e64 v6, 0, 1, vcc_lo
	v_cmp_gt_i32_e32 vcc_lo, 1, v7
	v_or_b32_e32 v6, v13, v6
	s_wait_alu 0xfffd
	v_cndmask_b32_e32 v8, v10, v8, vcc_lo
	v_cmp_gt_i32_e32 vcc_lo, 1, v9
	s_delay_alu instid0(VALU_DEP_2)
	v_and_b32_e32 v10, 7, v8
	s_wait_alu 0xfffd
	v_cndmask_b32_e32 v6, v11, v6, vcc_lo
	v_cmp_ne_u32_e32 vcc_lo, 0, v2
	v_lshrrev_b32_e32 v8, 2, v8
	v_cmp_eq_u32_e64 s0, 3, v10
	s_delay_alu instid0(VALU_DEP_4)
	v_and_b32_e32 v11, 7, v6
	s_wait_alu 0xfffd
	v_cndmask_b32_e64 v2, 0, 1, vcc_lo
	v_cmp_ne_u32_e32 vcc_lo, 0, v4
	v_lshrrev_b32_e32 v6, 2, v6
	v_cmp_lt_i32_e64 s1, 5, v11
	v_cmp_eq_u32_e64 s2, 3, v11
	s_wait_alu 0xfffd
	v_cndmask_b32_e64 v4, 0, 1, vcc_lo
	v_cmp_lt_i32_e32 vcc_lo, 5, v10
	v_lshl_or_b32 v2, v2, 9, 0x7c00
	s_delay_alu instid0(VALU_DEP_3)
	v_lshl_or_b32 v4, v4, 9, 0x7c00
	s_or_b32 vcc_lo, s0, vcc_lo
	s_wait_alu 0xfffe
	v_add_co_ci_u32_e32 v8, vcc_lo, 0, v8, vcc_lo
	s_or_b32 vcc_lo, s2, s1
	s_wait_alu 0xfffe
	v_add_co_ci_u32_e32 v6, vcc_lo, 0, v6, vcc_lo
	v_cmp_gt_i32_e32 vcc_lo, 31, v7
	s_wait_alu 0xfffd
	v_cndmask_b32_e32 v8, 0x7c00, v8, vcc_lo
	v_cmp_gt_i32_e32 vcc_lo, 31, v9
	s_wait_alu 0xfffd
	v_cndmask_b32_e32 v6, 0x7c00, v6, vcc_lo
	v_cmp_eq_u32_e32 vcc_lo, 0x40f, v7
	s_wait_alu 0xfffd
	v_cndmask_b32_e32 v2, v8, v2, vcc_lo
	v_cmp_eq_u32_e32 vcc_lo, 0x40f, v9
	s_delay_alu instid0(VALU_DEP_2) | instskip(SKIP_3) | instid1(VALU_DEP_3)
	v_and_or_b32 v3, 0x8000, v3, v2
	s_wait_alu 0xfffd
	v_cndmask_b32_e32 v4, v6, v4, vcc_lo
	v_mad_co_u64_u32 v[1:2], null, 0x318, s5, v[1:2]
	v_and_b32_e32 v3, 0xffff, v3
	s_delay_alu instid0(VALU_DEP_3) | instskip(NEXT) | instid1(VALU_DEP_1)
	v_and_or_b32 v2, 0x8000, v5, v4
	v_lshl_or_b32 v2, v2, 16, v3
	global_store_b32 v[0:1], v2, off
.LBB0_15:
	s_nop 0
	s_sendmsg sendmsg(MSG_DEALLOC_VGPRS)
	s_endpgm
	.section	.rodata,"a",@progbits
	.p2align	6, 0x0
	.amdhsa_kernel bluestein_single_fwd_len1683_dim1_half_op_CI_CI
		.amdhsa_group_segment_fixed_size 6732
		.amdhsa_private_segment_fixed_size 204
		.amdhsa_kernarg_size 104
		.amdhsa_user_sgpr_count 2
		.amdhsa_user_sgpr_dispatch_ptr 0
		.amdhsa_user_sgpr_queue_ptr 0
		.amdhsa_user_sgpr_kernarg_segment_ptr 1
		.amdhsa_user_sgpr_dispatch_id 0
		.amdhsa_user_sgpr_private_segment_size 0
		.amdhsa_wavefront_size32 1
		.amdhsa_uses_dynamic_stack 0
		.amdhsa_enable_private_segment 1
		.amdhsa_system_sgpr_workgroup_id_x 1
		.amdhsa_system_sgpr_workgroup_id_y 0
		.amdhsa_system_sgpr_workgroup_id_z 0
		.amdhsa_system_sgpr_workgroup_info 0
		.amdhsa_system_vgpr_workitem_id 0
		.amdhsa_next_free_vgpr 256
		.amdhsa_next_free_sgpr 16
		.amdhsa_reserve_vcc 1
		.amdhsa_float_round_mode_32 0
		.amdhsa_float_round_mode_16_64 0
		.amdhsa_float_denorm_mode_32 3
		.amdhsa_float_denorm_mode_16_64 3
		.amdhsa_fp16_overflow 0
		.amdhsa_workgroup_processor_mode 1
		.amdhsa_memory_ordered 1
		.amdhsa_forward_progress 0
		.amdhsa_round_robin_scheduling 0
		.amdhsa_exception_fp_ieee_invalid_op 0
		.amdhsa_exception_fp_denorm_src 0
		.amdhsa_exception_fp_ieee_div_zero 0
		.amdhsa_exception_fp_ieee_overflow 0
		.amdhsa_exception_fp_ieee_underflow 0
		.amdhsa_exception_fp_ieee_inexact 0
		.amdhsa_exception_int_div_zero 0
	.end_amdhsa_kernel
	.text
.Lfunc_end0:
	.size	bluestein_single_fwd_len1683_dim1_half_op_CI_CI, .Lfunc_end0-bluestein_single_fwd_len1683_dim1_half_op_CI_CI
                                        ; -- End function
	.section	.AMDGPU.csdata,"",@progbits
; Kernel info:
; codeLenInByte = 87532
; NumSgprs: 18
; NumVgprs: 256
; ScratchSize: 204
; MemoryBound: 0
; FloatMode: 240
; IeeeMode: 1
; LDSByteSize: 6732 bytes/workgroup (compile time only)
; SGPRBlocks: 2
; VGPRBlocks: 31
; NumSGPRsForWavesPerEU: 18
; NumVGPRsForWavesPerEU: 256
; Occupancy: 5
; WaveLimiterHint : 1
; COMPUTE_PGM_RSRC2:SCRATCH_EN: 1
; COMPUTE_PGM_RSRC2:USER_SGPR: 2
; COMPUTE_PGM_RSRC2:TRAP_HANDLER: 0
; COMPUTE_PGM_RSRC2:TGID_X_EN: 1
; COMPUTE_PGM_RSRC2:TGID_Y_EN: 0
; COMPUTE_PGM_RSRC2:TGID_Z_EN: 0
; COMPUTE_PGM_RSRC2:TIDIG_COMP_CNT: 0
	.text
	.p2alignl 7, 3214868480
	.fill 96, 4, 3214868480
	.type	__hip_cuid_579a1587186400b1,@object ; @__hip_cuid_579a1587186400b1
	.section	.bss,"aw",@nobits
	.globl	__hip_cuid_579a1587186400b1
__hip_cuid_579a1587186400b1:
	.byte	0                               ; 0x0
	.size	__hip_cuid_579a1587186400b1, 1

	.ident	"AMD clang version 19.0.0git (https://github.com/RadeonOpenCompute/llvm-project roc-6.4.0 25133 c7fe45cf4b819c5991fe208aaa96edf142730f1d)"
	.section	".note.GNU-stack","",@progbits
	.addrsig
	.addrsig_sym __hip_cuid_579a1587186400b1
	.amdgpu_metadata
---
amdhsa.kernels:
  - .args:
      - .actual_access:  read_only
        .address_space:  global
        .offset:         0
        .size:           8
        .value_kind:     global_buffer
      - .actual_access:  read_only
        .address_space:  global
        .offset:         8
        .size:           8
        .value_kind:     global_buffer
      - .actual_access:  read_only
        .address_space:  global
        .offset:         16
        .size:           8
        .value_kind:     global_buffer
      - .actual_access:  read_only
        .address_space:  global
        .offset:         24
        .size:           8
        .value_kind:     global_buffer
      - .actual_access:  read_only
        .address_space:  global
        .offset:         32
        .size:           8
        .value_kind:     global_buffer
      - .offset:         40
        .size:           8
        .value_kind:     by_value
      - .address_space:  global
        .offset:         48
        .size:           8
        .value_kind:     global_buffer
      - .address_space:  global
        .offset:         56
        .size:           8
        .value_kind:     global_buffer
      - .address_space:  global
        .offset:         64
        .size:           8
        .value_kind:     global_buffer
      - .address_space:  global
        .offset:         72
        .size:           8
        .value_kind:     global_buffer
      - .offset:         80
        .size:           4
        .value_kind:     by_value
      - .address_space:  global
        .offset:         88
        .size:           8
        .value_kind:     global_buffer
      - .address_space:  global
        .offset:         96
        .size:           8
        .value_kind:     global_buffer
    .group_segment_fixed_size: 6732
    .kernarg_segment_align: 8
    .kernarg_segment_size: 104
    .language:       OpenCL C
    .language_version:
      - 2
      - 0
    .max_flat_workgroup_size: 51
    .name:           bluestein_single_fwd_len1683_dim1_half_op_CI_CI
    .private_segment_fixed_size: 204
    .sgpr_count:     18
    .sgpr_spill_count: 0
    .symbol:         bluestein_single_fwd_len1683_dim1_half_op_CI_CI.kd
    .uniform_work_group_size: 1
    .uses_dynamic_stack: false
    .vgpr_count:     256
    .vgpr_spill_count: 50
    .wavefront_size: 32
    .workgroup_processor_mode: 1
amdhsa.target:   amdgcn-amd-amdhsa--gfx1201
amdhsa.version:
  - 1
  - 2
...

	.end_amdgpu_metadata
